;; amdgpu-corpus repo=ROCm/rocFFT kind=compiled arch=gfx1201 opt=O3
	.text
	.amdgcn_target "amdgcn-amd-amdhsa--gfx1201"
	.amdhsa_code_object_version 6
	.protected	fft_rtc_back_len80_factors_2_2_4_5_wgs_255_tpt_5_halfLds_dim2_sp_ip_CI_sbcc_twdbase8_3step_dirReg ; -- Begin function fft_rtc_back_len80_factors_2_2_4_5_wgs_255_tpt_5_halfLds_dim2_sp_ip_CI_sbcc_twdbase8_3step_dirReg
	.globl	fft_rtc_back_len80_factors_2_2_4_5_wgs_255_tpt_5_halfLds_dim2_sp_ip_CI_sbcc_twdbase8_3step_dirReg
	.p2align	8
	.type	fft_rtc_back_len80_factors_2_2_4_5_wgs_255_tpt_5_halfLds_dim2_sp_ip_CI_sbcc_twdbase8_3step_dirReg,@function
fft_rtc_back_len80_factors_2_2_4_5_wgs_255_tpt_5_halfLds_dim2_sp_ip_CI_sbcc_twdbase8_3step_dirReg: ; @fft_rtc_back_len80_factors_2_2_4_5_wgs_255_tpt_5_halfLds_dim2_sp_ip_CI_sbcc_twdbase8_3step_dirReg
; %bb.0:
	s_load_b128 s[4:7], s[0:1], 0x10
	s_mov_b32 s3, 0
	s_mov_b32 s8, 0x504ad00
	;; [unrolled: 1-line block ×4, first 2 shown]
	s_movk_i32 s10, 0xffcd
	s_add_nc_u64 s[8:9], s[2:3], s[8:9]
	s_mov_b32 s11, -1
	s_add_co_i32 s9, s9, 0x50504f0
	s_mov_b32 s18, -1
	s_mul_u64 s[12:13], s[8:9], s[10:11]
	s_delay_alu instid0(SALU_CYCLE_1)
	s_mul_hi_u32 s2, s8, s12
	s_mul_i32 s15, s9, s12
	s_mul_hi_u32 s14, s9, s12
	s_mul_hi_u32 s16, s9, s13
	s_mul_i32 s12, s9, s13
	s_wait_kmcnt 0x0
	s_load_b64 s[10:11], s[4:5], 0x8
	s_mul_hi_u32 s5, s8, s13
	s_mul_i32 s4, s8, s13
	s_delay_alu instid0(SALU_CYCLE_1) | instskip(NEXT) | instid1(SALU_CYCLE_1)
	s_add_nc_u64 s[4:5], s[2:3], s[4:5]
	s_add_co_u32 s2, s4, s15
	s_add_co_ci_u32 s2, s5, s14
	s_add_co_ci_u32 s13, s16, 0
	s_mov_b64 s[16:17], 0
	s_add_nc_u64 s[4:5], s[2:3], s[12:13]
	s_delay_alu instid0(SALU_CYCLE_1) | instskip(NEXT) | instid1(VALU_DEP_1)
	v_add_co_u32 v1, s2, s8, s4
	s_cmp_lg_u32 s2, 0
	s_add_co_ci_u32 s12, s9, s5
	s_delay_alu instid0(VALU_DEP_1)
	v_readfirstlane_b32 s13, v1
	s_wait_kmcnt 0x0
	s_add_nc_u64 s[4:5], s[10:11], -1
	s_wait_alu 0xfffe
	s_mul_hi_u32 s9, s4, s12
	s_mul_i32 s8, s4, s12
	s_mul_hi_u32 s2, s4, s13
	s_mul_hi_u32 s15, s5, s13
	s_mul_i32 s13, s5, s13
	s_wait_alu 0xfffe
	s_add_nc_u64 s[8:9], s[2:3], s[8:9]
	s_mul_hi_u32 s14, s5, s12
	s_wait_alu 0xfffe
	s_add_co_u32 s2, s8, s13
	s_add_co_ci_u32 s2, s9, s15
	s_mul_i32 s12, s5, s12
	s_add_co_ci_u32 s13, s14, 0
	s_delay_alu instid0(SALU_CYCLE_1) | instskip(NEXT) | instid1(SALU_CYCLE_1)
	s_add_nc_u64 s[12:13], s[2:3], s[12:13]
	s_mul_u64 s[8:9], s[12:13], 51
	s_wait_alu 0xfffe
	v_sub_co_u32 v1, s2, s4, s8
	s_delay_alu instid0(VALU_DEP_1) | instskip(SKIP_1) | instid1(VALU_DEP_1)
	s_cmp_lg_u32 s2, 0
	s_sub_co_ci_u32 s14, s5, s9
	v_sub_co_u32 v2, s4, v1, 51
	s_delay_alu instid0(VALU_DEP_1) | instskip(SKIP_2) | instid1(VALU_DEP_2)
	s_cmp_lg_u32 s4, 0
	v_readfirstlane_b32 s15, v1
	s_sub_co_ci_u32 s8, s14, 0
	v_readfirstlane_b32 s2, v2
	s_add_nc_u64 s[4:5], s[12:13], 1
	s_delay_alu instid0(VALU_DEP_1)
	s_cmp_gt_u32 s2, 50
	s_cselect_b32 s2, -1, 0
	s_wait_alu 0xfffe
	s_cmp_eq_u32 s8, 0
	s_add_nc_u64 s[8:9], s[12:13], 2
	s_cselect_b32 s2, s2, -1
	s_delay_alu instid0(SALU_CYCLE_1)
	s_cmp_lg_u32 s2, 0
	s_wait_alu 0xfffe
	s_cselect_b32 s2, s8, s4
	s_cselect_b32 s4, s9, s5
	s_cmp_gt_u32 s15, 50
	s_load_b64 s[8:9], s[6:7], 0x0
	s_cselect_b32 s5, -1, 0
	s_cmp_eq_u32 s14, 0
	s_wait_alu 0xfffe
	s_cselect_b32 s5, s5, -1
	s_wait_alu 0xfffe
	s_cmp_lg_u32 s5, 0
	s_cselect_b32 s5, s4, s13
	s_cselect_b32 s4, s2, s12
	s_mov_b32 s2, ttmp9
	s_wait_alu 0xfffe
	s_add_nc_u64 s[4:5], s[4:5], 1
	s_wait_alu 0xfffe
	v_cmp_lt_u64_e64 s12, s[2:3], s[4:5]
	s_delay_alu instid0(VALU_DEP_1)
	s_and_b32 vcc_lo, exec_lo, s12
	s_cbranch_vccnz .LBB0_2
; %bb.1:
	v_cvt_f32_u32_e32 v1, s4
	s_sub_co_i32 s13, 0, s4
	s_mov_b32 s17, s3
	s_delay_alu instid0(VALU_DEP_1) | instskip(NEXT) | instid1(TRANS32_DEP_1)
	v_rcp_iflag_f32_e32 v1, v1
	v_mul_f32_e32 v1, 0x4f7ffffe, v1
	s_delay_alu instid0(VALU_DEP_1) | instskip(NEXT) | instid1(VALU_DEP_1)
	v_cvt_u32_f32_e32 v1, v1
	v_readfirstlane_b32 s12, v1
	s_delay_alu instid0(VALU_DEP_1) | instskip(NEXT) | instid1(SALU_CYCLE_1)
	s_mul_i32 s13, s13, s12
	s_mul_hi_u32 s13, s12, s13
	s_delay_alu instid0(SALU_CYCLE_1) | instskip(NEXT) | instid1(SALU_CYCLE_1)
	s_add_co_i32 s12, s12, s13
	s_mul_hi_u32 s12, s2, s12
	s_delay_alu instid0(SALU_CYCLE_1) | instskip(SKIP_2) | instid1(SALU_CYCLE_1)
	s_mul_i32 s13, s12, s4
	s_add_co_i32 s14, s12, 1
	s_sub_co_i32 s13, s2, s13
	s_sub_co_i32 s15, s13, s4
	s_cmp_ge_u32 s13, s4
	s_cselect_b32 s12, s14, s12
	s_cselect_b32 s13, s15, s13
	s_add_co_i32 s14, s12, 1
	s_cmp_ge_u32 s13, s4
	s_cselect_b32 s16, s14, s12
.LBB0_2:
	v_mul_u32_u24_e32 v1, 0x506, v0
	s_mul_u64 s[12:13], s[16:17], s[4:5]
	s_load_b128 s[4:7], s[6:7], 0x8
	s_sub_nc_u64 s[2:3], s[2:3], s[12:13]
	s_clause 0x1
	s_load_b64 s[14:15], s[0:1], 0x0
	s_load_b64 s[12:13], s[0:1], 0x50
	v_lshrrev_b32_e32 v96, 16, v1
	s_mul_u64 s[20:21], s[2:3], 51
	s_delay_alu instid0(SALU_CYCLE_1) | instskip(NEXT) | instid1(SALU_CYCLE_1)
	s_add_nc_u64 s[22:23], s[20:21], 51
	v_cmp_gt_u64_e64 s2, s[22:23], s[10:11]
	s_delay_alu instid0(VALU_DEP_2)
	v_mul_lo_u16 v1, v96, 51
	v_cmp_le_u64_e64 s3, s[22:23], s[10:11]
	v_add_nc_u32_e32 v35, 5, v96
	v_add_nc_u32_e32 v36, 10, v96
	;; [unrolled: 1-line block ×3, first 2 shown]
	v_sub_nc_u16 v1, v0, v1
	s_and_b32 vcc_lo, exec_lo, s2
	v_add_nc_u32_e32 v38, 20, v96
	v_add_nc_u32_e32 v39, 25, v96
	;; [unrolled: 1-line block ×3, first 2 shown]
	v_and_b32_e32 v95, 0xffff, v1
	v_add_nc_u32_e32 v41, 35, v96
	s_wait_kmcnt 0x0
	s_mul_u64 s[22:23], s[20:21], s[4:5]
	s_mul_u64 s[6:7], s[6:7], s[16:17]
	v_add_co_u32 v25, s2, s20, v95
	s_wait_alu 0xf1ff
	v_add_co_ci_u32_e64 v26, null, s21, 0, s2
	s_wait_alu 0xfffe
	s_add_nc_u64 s[6:7], s[6:7], s[22:23]
	s_cbranch_vccnz .LBB0_4
; %bb.3:
	v_mad_co_u64_u32 v[1:2], null, s4, v95, 0
	v_mad_co_u64_u32 v[3:4], null, s8, v96, 0
	v_or_b32_e32 v11, 40, v96
	v_add_nc_u32_e32 v98, 5, v96
	s_lshl_b64 s[16:17], s[6:7], 3
	v_add_nc_u32_e32 v47, 25, v96
	s_add_nc_u64 s[16:17], s[12:13], s[16:17]
	v_mad_co_u64_u32 v[5:6], null, s8, v11, 0
	v_mad_co_u64_u32 v[7:8], null, s5, v95, v[2:3]
	v_add_nc_u32_e32 v13, 45, v96
	v_mad_co_u64_u32 v[29:30], null, s8, v47, 0
	v_add_nc_u32_e32 v97, 10, v96
	v_mad_co_u64_u32 v[8:9], null, s9, v96, v[4:5]
	v_mov_b32_e32 v4, v6
	v_mov_b32_e32 v2, v7
	v_mad_co_u64_u32 v[9:10], null, s8, v98, 0
	v_add_nc_u32_e32 v49, 35, v96
	s_delay_alu instid0(VALU_DEP_4) | instskip(SKIP_4) | instid1(VALU_DEP_4)
	v_mad_co_u64_u32 v[6:7], null, s9, v11, v[4:5]
	v_mov_b32_e32 v4, v8
	v_lshlrev_b64_e32 v[1:2], 3, v[1:2]
	v_mad_co_u64_u32 v[7:8], null, s8, v13, 0
	v_add_nc_u32_e32 v99, 15, v96
	v_lshlrev_b64_e32 v[3:4], 3, v[3:4]
	v_lshlrev_b64_e32 v[5:6], 3, v[5:6]
	v_add_co_u32 v52, vcc_lo, s16, v1
	v_add_co_ci_u32_e32 v53, vcc_lo, s17, v2, vcc_lo
	v_mad_co_u64_u32 v[1:2], null, s9, v98, v[10:11]
	v_mov_b32_e32 v2, v8
	s_delay_alu instid0(VALU_DEP_4) | instskip(SKIP_3) | instid1(VALU_DEP_3)
	v_add_co_u32 v3, vcc_lo, v52, v3
	v_mad_co_u64_u32 v[11:12], null, s8, v97, 0
	s_wait_alu 0xfffd
	v_add_co_ci_u32_e32 v4, vcc_lo, v53, v4, vcc_lo
	v_mad_co_u64_u32 v[13:14], null, s9, v13, v[2:3]
	v_add_co_u32 v14, vcc_lo, v52, v5
	s_wait_alu 0xfffd
	v_add_co_ci_u32_e32 v15, vcc_lo, v53, v6, vcc_lo
	v_mad_co_u64_u32 v[18:19], null, s8, v99, 0
	s_delay_alu instid0(VALU_DEP_4) | instskip(SKIP_4) | instid1(VALU_DEP_4)
	v_dual_mov_b32 v8, v13 :: v_dual_add_nc_u32 v23, 55, v96
	v_add_nc_u32_e32 v13, 50, v96
	v_add_nc_u32_e32 v42, 20, v96
	;; [unrolled: 1-line block ×4, first 2 shown]
	v_mad_co_u64_u32 v[16:17], null, s8, v13, 0
	v_dual_mov_b32 v10, v1 :: v_dual_mov_b32 v1, v12
	v_add_nc_u32_e32 v34, 0x46, v96
	v_add_nc_u32_e32 v50, 0x4b, v96
	s_delay_alu instid0(VALU_DEP_3) | instskip(NEXT) | instid1(VALU_DEP_4)
	v_lshlrev_b64_e32 v[5:6], 3, v[9:10]
	v_mad_co_u64_u32 v[1:2], null, s9, v97, v[1:2]
	s_delay_alu instid0(VALU_DEP_3) | instskip(NEXT) | instid1(VALU_DEP_3)
	v_mad_co_u64_u32 v[43:44], null, s8, v50, 0
	v_add_co_u32 v9, vcc_lo, v52, v5
	s_wait_alu 0xfffd
	s_delay_alu instid0(VALU_DEP_4) | instskip(SKIP_2) | instid1(VALU_DEP_2)
	v_add_co_ci_u32_e32 v10, vcc_lo, v53, v6, vcc_lo
	v_lshlrev_b64_e32 v[5:6], 3, v[7:8]
	v_mov_b32_e32 v12, v1
	v_add_co_u32 v1, vcc_lo, v52, v5
	s_wait_alu 0xfffd
	s_delay_alu instid0(VALU_DEP_3) | instskip(SKIP_1) | instid1(VALU_DEP_1)
	v_add_co_ci_u32_e32 v2, vcc_lo, v53, v6, vcc_lo
	v_dual_mov_b32 v5, v17 :: v_dual_mov_b32 v6, v19
	v_mad_co_u64_u32 v[19:20], null, s9, v13, v[5:6]
	v_mad_co_u64_u32 v[20:21], null, s9, v99, v[6:7]
	;; [unrolled: 1-line block ×3, first 2 shown]
	s_clause 0x3
	global_load_b64 v[5:6], v[3:4], off
	global_load_b64 v[7:8], v[14:15], off
	;; [unrolled: 1-line block ×4, first 2 shown]
	v_mov_b32_e32 v17, v19
	v_lshlrev_b64_e32 v[11:12], 3, v[11:12]
	v_mov_b32_e32 v19, v20
	s_delay_alu instid0(VALU_DEP_2) | instskip(SKIP_1) | instid1(VALU_DEP_3)
	v_add_co_u32 v9, vcc_lo, v52, v11
	s_wait_alu 0xfffd
	v_add_co_ci_u32_e32 v10, vcc_lo, v53, v12, vcc_lo
	v_lshlrev_b64_e32 v[12:13], 3, v[16:17]
	v_mov_b32_e32 v11, v22
	s_delay_alu instid0(VALU_DEP_1)
	v_mad_co_u64_u32 v[14:15], null, s9, v23, v[11:12]
	v_lshlrev_b64_e32 v[15:16], 3, v[18:19]
	v_mad_co_u64_u32 v[17:18], null, s8, v42, 0
	v_add_co_u32 v11, vcc_lo, v52, v12
	s_wait_alu 0xfffd
	v_add_co_ci_u32_e32 v12, vcc_lo, v53, v13, vcc_lo
	v_mov_b32_e32 v22, v14
	v_add_co_u32 v19, vcc_lo, v52, v15
	v_mov_b32_e32 v13, v18
	s_wait_alu 0xfffd
	v_add_co_ci_u32_e32 v20, vcc_lo, v53, v16, vcc_lo
	v_lshlrev_b64_e32 v[14:15], 3, v[21:22]
	v_mad_co_u64_u32 v[21:22], null, s8, v31, 0
	s_delay_alu instid0(VALU_DEP_2) | instskip(SKIP_1) | instid1(VALU_DEP_3)
	v_mad_co_u64_u32 v[23:24], null, s9, v42, v[13:14]
	v_add_co_u32 v27, vcc_lo, v52, v14
	v_mov_b32_e32 v13, v22
	s_wait_alu 0xfffd
	v_add_co_ci_u32_e32 v28, vcc_lo, v53, v15, vcc_lo
	s_delay_alu instid0(VALU_DEP_4) | instskip(NEXT) | instid1(VALU_DEP_3)
	v_mov_b32_e32 v18, v23
	v_mad_co_u64_u32 v[22:23], null, s9, v31, v[13:14]
	s_clause 0x3
	global_load_b64 v[13:14], v[9:10], off
	global_load_b64 v[15:16], v[11:12], off
	;; [unrolled: 1-line block ×4, first 2 shown]
	v_mov_b32_e32 v19, v30
	v_add_nc_u32_e32 v31, 0x41, v96
	v_lshlrev_b64_e32 v[17:18], 3, v[17:18]
	v_mad_co_u64_u32 v[27:28], null, s8, v48, 0
	s_delay_alu instid0(VALU_DEP_4) | instskip(NEXT) | instid1(VALU_DEP_4)
	v_mad_co_u64_u32 v[19:20], null, s9, v47, v[19:20]
	v_mad_co_u64_u32 v[23:24], null, s8, v31, 0
	v_lshlrev_b64_e32 v[20:21], 3, v[21:22]
	v_add_co_u32 v17, vcc_lo, v52, v17
	s_wait_alu 0xfffd
	v_add_co_ci_u32_e32 v18, vcc_lo, v53, v18, vcc_lo
	s_delay_alu instid0(VALU_DEP_4) | instskip(NEXT) | instid1(VALU_DEP_1)
	v_dual_mov_b32 v30, v19 :: v_dual_mov_b32 v19, v24
	v_mad_co_u64_u32 v[31:32], null, s9, v31, v[19:20]
	v_mad_co_u64_u32 v[32:33], null, s8, v34, 0
	v_add_co_u32 v19, vcc_lo, v52, v20
	s_wait_alu 0xfffd
	v_add_co_ci_u32_e32 v20, vcc_lo, v53, v21, vcc_lo
	s_delay_alu instid0(VALU_DEP_4) | instskip(SKIP_2) | instid1(VALU_DEP_3)
	v_dual_mov_b32 v24, v31 :: v_dual_mov_b32 v21, v28
	v_lshlrev_b64_e32 v[28:29], 3, v[29:30]
	v_mad_co_u64_u32 v[30:31], null, s8, v49, 0
	v_mad_co_u64_u32 v[21:22], null, s9, v48, v[21:22]
	v_mov_b32_e32 v22, v33
	s_delay_alu instid0(VALU_DEP_4) | instskip(SKIP_2) | instid1(VALU_DEP_3)
	v_add_co_u32 v45, vcc_lo, v52, v28
	s_wait_alu 0xfffd
	v_add_co_ci_u32_e32 v46, vcc_lo, v53, v29, vcc_lo
	v_mad_co_u64_u32 v[33:34], null, s9, v34, v[22:23]
	v_lshlrev_b64_e32 v[23:24], 3, v[23:24]
	v_mov_b32_e32 v22, v31
	v_mov_b32_e32 v28, v21
	s_delay_alu instid0(VALU_DEP_2)
	v_mad_co_u64_u32 v[21:22], null, s9, v49, v[22:23]
	v_mov_b32_e32 v22, v44
	v_add_co_u32 v23, vcc_lo, v52, v23
	s_wait_alu 0xfffd
	v_add_co_ci_u32_e32 v24, vcc_lo, v53, v24, vcc_lo
	v_lshlrev_b64_e32 v[32:33], 3, v[32:33]
	v_mov_b32_e32 v31, v21
	v_mad_co_u64_u32 v[50:51], null, s9, v50, v[22:23]
	v_lshlrev_b64_e32 v[27:28], 3, v[27:28]
	s_delay_alu instid0(VALU_DEP_1) | instskip(NEXT) | instid1(VALU_DEP_3)
	v_add_co_u32 v21, vcc_lo, v52, v27
	v_mov_b32_e32 v44, v50
	s_wait_alu 0xfffd
	s_delay_alu instid0(VALU_DEP_3)
	v_add_co_ci_u32_e32 v22, vcc_lo, v53, v28, vcc_lo
	v_lshlrev_b64_e32 v[27:28], 3, v[30:31]
	v_add_co_u32 v29, vcc_lo, v52, v32
	v_lshlrev_b64_e32 v[31:32], 3, v[43:44]
	s_wait_alu 0xfffd
	v_add_co_ci_u32_e32 v30, vcc_lo, v53, v33, vcc_lo
	s_delay_alu instid0(VALU_DEP_4)
	v_add_co_u32 v43, vcc_lo, v52, v27
	s_wait_alu 0xfffd
	v_add_co_ci_u32_e32 v44, vcc_lo, v53, v28, vcc_lo
	v_add_co_u32 v50, vcc_lo, v52, v31
	s_wait_alu 0xfffd
	v_add_co_ci_u32_e32 v51, vcc_lo, v53, v32, vcc_lo
	s_clause 0x7
	global_load_b64 v[31:32], v[17:18], off
	global_load_b64 v[33:34], v[19:20], off
	;; [unrolled: 1-line block ×8, first 2 shown]
	s_cbranch_execz .LBB0_5
	s_branch .LBB0_10
.LBB0_4:
                                        ; implicit-def: $vgpr1
                                        ; implicit-def: $vgpr9
                                        ; implicit-def: $vgpr19
                                        ; implicit-def: $vgpr21
                                        ; implicit-def: $vgpr17
                                        ; implicit-def: $vgpr29
                                        ; implicit-def: $vgpr23
                                        ; implicit-def: $vgpr27
                                        ; implicit-def: $vgpr33
                                        ; implicit-def: $vgpr31
                                        ; implicit-def: $vgpr11
                                        ; implicit-def: $vgpr15
                                        ; implicit-def: $vgpr13
                                        ; implicit-def: $vgpr3
                                        ; implicit-def: $vgpr7
                                        ; implicit-def: $vgpr5
                                        ; implicit-def: $vgpr98
                                        ; implicit-def: $vgpr97
                                        ; implicit-def: $vgpr99
                                        ; implicit-def: $vgpr42
                                        ; implicit-def: $vgpr47
                                        ; implicit-def: $vgpr48
                                        ; implicit-def: $vgpr49
	s_and_not1_b32 vcc_lo, exec_lo, s18
	s_cbranch_vccnz .LBB0_10
.LBB0_5:
	s_mov_b32 s2, exec_lo
                                        ; implicit-def: $vgpr98
                                        ; implicit-def: $vgpr97
                                        ; implicit-def: $vgpr99
                                        ; implicit-def: $vgpr42
                                        ; implicit-def: $vgpr47
                                        ; implicit-def: $vgpr48
                                        ; implicit-def: $vgpr49
	v_cmpx_le_u64_e64 s[10:11], v[25:26]
	s_wait_alu 0xfffe
	s_xor_b32 s2, exec_lo, s2
; %bb.6:
	v_add_nc_u32_e32 v98, 5, v96
	v_add_nc_u32_e32 v97, 10, v96
	;; [unrolled: 1-line block ×7, first 2 shown]
                                        ; implicit-def: $vgpr35
                                        ; implicit-def: $vgpr36
                                        ; implicit-def: $vgpr37
                                        ; implicit-def: $vgpr38
                                        ; implicit-def: $vgpr39
                                        ; implicit-def: $vgpr40
                                        ; implicit-def: $vgpr41
; %bb.7:
	s_wait_alu 0xfffe
	s_or_saveexec_b32 s2, s2
                                        ; implicit-def: $vgpr1
                                        ; implicit-def: $vgpr9
                                        ; implicit-def: $vgpr19
                                        ; implicit-def: $vgpr21
                                        ; implicit-def: $vgpr17
                                        ; implicit-def: $vgpr29
                                        ; implicit-def: $vgpr23
                                        ; implicit-def: $vgpr27
                                        ; implicit-def: $vgpr33
                                        ; implicit-def: $vgpr31
                                        ; implicit-def: $vgpr11
                                        ; implicit-def: $vgpr15
                                        ; implicit-def: $vgpr13
                                        ; implicit-def: $vgpr3
                                        ; implicit-def: $vgpr7
                                        ; implicit-def: $vgpr5
	s_wait_alu 0xfffe
	s_xor_b32 exec_lo, exec_lo, s2
	s_cbranch_execz .LBB0_9
; %bb.8:
	s_wait_loadcnt 0xc
	v_mad_co_u64_u32 v[1:2], null, s4, v95, 0
	v_mad_co_u64_u32 v[3:4], null, s8, v96, 0
	s_wait_loadcnt 0xb
	v_or_b32_e32 v13, 40, v96
	v_mad_co_u64_u32 v[5:6], null, s8, v35, 0
	v_add_nc_u32_e32 v14, 45, v96
	s_wait_loadcnt 0x1
	v_add_nc_u32_e32 v17, 50, v96
	v_mad_co_u64_u32 v[7:8], null, s8, v13, 0
	v_mad_co_u64_u32 v[9:10], null, s5, v95, v[2:3]
	v_mov_b32_e32 v2, v6
	v_mad_co_u64_u32 v[10:11], null, s9, v96, v[4:5]
	s_wait_loadcnt 0x0
	s_delay_alu instid0(VALU_DEP_4) | instskip(NEXT) | instid1(VALU_DEP_3)
	v_dual_mov_b32 v4, v8 :: v_dual_add_nc_u32 v21, 55, v96
	v_mad_co_u64_u32 v[11:12], null, s9, v35, v[2:3]
	v_mov_b32_e32 v2, v9
	s_delay_alu instid0(VALU_DEP_3) | instskip(NEXT) | instid1(VALU_DEP_4)
	v_mad_co_u64_u32 v[19:20], null, s8, v21, 0
	v_mad_co_u64_u32 v[8:9], null, s9, v13, v[4:5]
	v_mov_b32_e32 v4, v10
	s_delay_alu instid0(VALU_DEP_4)
	v_lshlrev_b64_e32 v[1:2], 3, v[1:2]
	s_lshl_b64 s[16:17], s[6:7], 3
	v_mad_co_u64_u32 v[9:10], null, s8, v14, 0
	s_wait_alu 0xfffe
	s_add_nc_u64 s[16:17], s[12:13], s[16:17]
	v_lshlrev_b64_e32 v[3:4], 3, v[3:4]
	s_wait_alu 0xfffe
	v_add_co_u32 v50, vcc_lo, s16, v1
	v_mov_b32_e32 v6, v11
	s_wait_alu 0xfffd
	v_add_co_ci_u32_e32 v51, vcc_lo, s17, v2, vcc_lo
	s_delay_alu instid0(VALU_DEP_3) | instskip(SKIP_2) | instid1(VALU_DEP_3)
	v_add_co_u32 v1, vcc_lo, v50, v3
	v_mov_b32_e32 v3, v10
	s_wait_alu 0xfffd
	v_add_co_ci_u32_e32 v2, vcc_lo, v51, v4, vcc_lo
	v_lshlrev_b64_e32 v[4:5], 3, v[5:6]
	v_lshlrev_b64_e32 v[7:8], 3, v[7:8]
	v_mad_co_u64_u32 v[23:24], null, s8, v39, 0
	v_mad_co_u64_u32 v[29:30], null, s8, v40, 0
	s_delay_alu instid0(VALU_DEP_4)
	v_mad_co_u64_u32 v[10:11], null, s9, v14, v[3:4]
	v_mad_co_u64_u32 v[11:12], null, s8, v36, 0
	v_mad_co_u64_u32 v[13:14], null, s8, v17, 0
	v_add_co_u32 v7, vcc_lo, v50, v7
	s_wait_alu 0xfffd
	v_add_co_ci_u32_e32 v8, vcc_lo, v51, v8, vcc_lo
	s_delay_alu instid0(VALU_DEP_4)
	v_mov_b32_e32 v3, v12
	v_add_co_u32 v15, vcc_lo, v50, v4
	v_dual_mov_b32 v4, v14 :: v_dual_add_nc_u32 v27, 60, v96
	s_wait_alu 0xfffd
	v_add_co_ci_u32_e32 v16, vcc_lo, v51, v5, vcc_lo
	v_lshlrev_b64_e32 v[5:6], 3, v[9:10]
	s_delay_alu instid0(VALU_DEP_3)
	v_mad_co_u64_u32 v[9:10], null, s9, v36, v[3:4]
	v_add_nc_u32_e32 v31, 0x41, v96
	v_add_nc_u32_e32 v42, 0x46, v96
	;; [unrolled: 1-line block ×3, first 2 shown]
	v_mad_co_u64_u32 v[3:4], null, s9, v17, v[4:5]
	v_add_co_u32 v17, vcc_lo, v50, v5
	v_mov_b32_e32 v12, v9
	v_mad_co_u64_u32 v[9:10], null, s8, v37, 0
	s_wait_alu 0xfffd
	v_add_co_ci_u32_e32 v18, vcc_lo, v51, v6, vcc_lo
	s_delay_alu instid0(VALU_DEP_3)
	v_lshlrev_b64_e32 v[11:12], 3, v[11:12]
	v_mov_b32_e32 v14, v3
	s_clause 0x3
	global_load_b64 v[5:6], v[1:2], off
	global_load_b64 v[7:8], v[7:8], off
	;; [unrolled: 1-line block ×4, first 2 shown]
	v_mov_b32_e32 v15, v20
	v_mad_co_u64_u32 v[33:34], null, s8, v41, 0
	v_mad_co_u64_u32 v[16:17], null, s9, v37, v[10:11]
	v_lshlrev_b64_e32 v[13:14], 3, v[13:14]
	v_add_co_u32 v11, vcc_lo, v50, v11
	s_wait_alu 0xfffd
	v_add_co_ci_u32_e32 v12, vcc_lo, v51, v12, vcc_lo
	v_mov_b32_e32 v97, v36
	v_mad_co_u64_u32 v[17:18], null, s9, v21, v[15:16]
	v_mad_co_u64_u32 v[21:22], null, s8, v38, 0
	v_mov_b32_e32 v10, v16
	v_add_co_u32 v15, vcc_lo, v50, v13
	s_wait_alu 0xfffd
	v_add_co_ci_u32_e32 v16, vcc_lo, v51, v14, vcc_lo
	s_delay_alu instid0(VALU_DEP_4) | instskip(SKIP_2) | instid1(VALU_DEP_3)
	v_dual_mov_b32 v20, v17 :: v_dual_mov_b32 v13, v22
	v_lshlrev_b64_e32 v[9:10], 3, v[9:10]
	v_dual_mov_b32 v99, v37 :: v_dual_mov_b32 v98, v35
	v_lshlrev_b64_e32 v[17:18], 3, v[19:20]
	v_mad_co_u64_u32 v[19:20], null, s8, v27, 0
	v_mad_co_u64_u32 v[13:14], null, s9, v38, v[13:14]
	v_add_co_u32 v9, vcc_lo, v50, v9
	s_wait_alu 0xfffd
	v_add_co_ci_u32_e32 v10, vcc_lo, v51, v10, vcc_lo
	s_delay_alu instid0(VALU_DEP_4)
	v_mov_b32_e32 v14, v20
	v_add_co_u32 v17, vcc_lo, v50, v17
	v_mov_b32_e32 v22, v13
	s_wait_alu 0xfffd
	v_add_co_ci_u32_e32 v18, vcc_lo, v51, v18, vcc_lo
	v_mad_co_u64_u32 v[27:28], null, s9, v27, v[14:15]
	s_clause 0x3
	global_load_b64 v[13:14], v[11:12], off
	global_load_b64 v[15:16], v[15:16], off
	;; [unrolled: 1-line block ×4, first 2 shown]
	v_lshlrev_b64_e32 v[17:18], 3, v[21:22]
	v_dual_mov_b32 v21, v24 :: v_dual_mov_b32 v20, v27
	v_mad_co_u64_u32 v[27:28], null, s8, v31, 0
	s_delay_alu instid0(VALU_DEP_2) | instskip(NEXT) | instid1(VALU_DEP_3)
	v_mad_co_u64_u32 v[21:22], null, s9, v39, v[21:22]
	v_lshlrev_b64_e32 v[19:20], 3, v[19:20]
	v_add_co_u32 v17, vcc_lo, v50, v17
	s_wait_alu 0xfffd
	v_add_co_ci_u32_e32 v18, vcc_lo, v51, v18, vcc_lo
	v_mov_b32_e32 v22, v28
	v_mov_b32_e32 v24, v21
	v_add_co_u32 v19, vcc_lo, v50, v19
	s_wait_alu 0xfffd
	v_add_co_ci_u32_e32 v20, vcc_lo, v51, v20, vcc_lo
	v_mad_co_u64_u32 v[21:22], null, s9, v31, v[22:23]
	v_mad_co_u64_u32 v[31:32], null, s8, v42, 0
	v_lshlrev_b64_e32 v[23:24], 3, v[23:24]
	v_mov_b32_e32 v22, v30
	s_delay_alu instid0(VALU_DEP_4) | instskip(NEXT) | instid1(VALU_DEP_2)
	v_mov_b32_e32 v28, v21
	v_mad_co_u64_u32 v[21:22], null, s9, v40, v[22:23]
	v_mov_b32_e32 v22, v32
	s_delay_alu instid0(VALU_DEP_3) | instskip(NEXT) | instid1(VALU_DEP_2)
	v_lshlrev_b64_e32 v[27:28], 3, v[27:28]
	v_mad_co_u64_u32 v[42:43], null, s9, v42, v[22:23]
	v_mad_co_u64_u32 v[43:44], null, s8, v48, 0
	v_add_co_u32 v22, vcc_lo, v50, v23
	s_wait_alu 0xfffd
	v_add_co_ci_u32_e32 v23, vcc_lo, v51, v24, vcc_lo
	v_mov_b32_e32 v24, v34
	s_delay_alu instid0(VALU_DEP_4) | instskip(SKIP_1) | instid1(VALU_DEP_3)
	v_dual_mov_b32 v30, v21 :: v_dual_mov_b32 v21, v44
	v_mov_b32_e32 v32, v42
	v_mad_co_u64_u32 v[45:46], null, s9, v41, v[24:25]
	v_add_co_u32 v46, vcc_lo, v50, v27
	s_wait_alu 0xfffd
	v_add_co_ci_u32_e32 v47, vcc_lo, v51, v28, vcc_lo
	v_lshlrev_b64_e32 v[27:28], 3, v[29:30]
	v_mad_co_u64_u32 v[29:30], null, s9, v48, v[21:22]
	v_lshlrev_b64_e32 v[30:31], 3, v[31:32]
	v_mov_b32_e32 v34, v45
	s_delay_alu instid0(VALU_DEP_4)
	v_add_co_u32 v48, vcc_lo, v50, v27
	s_wait_alu 0xfffd
	v_add_co_ci_u32_e32 v49, vcc_lo, v51, v28, vcc_lo
	v_mov_b32_e32 v44, v29
	v_lshlrev_b64_e32 v[27:28], 3, v[33:34]
	v_add_co_u32 v29, vcc_lo, v50, v30
	s_wait_alu 0xfffd
	v_add_co_ci_u32_e32 v30, vcc_lo, v51, v31, vcc_lo
	v_lshlrev_b64_e32 v[31:32], 3, v[43:44]
	s_delay_alu instid0(VALU_DEP_4) | instskip(SKIP_2) | instid1(VALU_DEP_3)
	v_add_co_u32 v42, vcc_lo, v50, v27
	s_wait_alu 0xfffd
	v_add_co_ci_u32_e32 v43, vcc_lo, v51, v28, vcc_lo
	v_add_co_u32 v44, vcc_lo, v50, v31
	s_wait_alu 0xfffd
	v_add_co_ci_u32_e32 v45, vcc_lo, v51, v32, vcc_lo
	s_clause 0x7
	global_load_b64 v[31:32], v[17:18], off
	global_load_b64 v[33:34], v[19:20], off
	;; [unrolled: 1-line block ×8, first 2 shown]
	v_dual_mov_b32 v49, v41 :: v_dual_mov_b32 v42, v38
	v_dual_mov_b32 v47, v39 :: v_dual_mov_b32 v48, v40
.LBB0_9:
	s_or_b32 exec_lo, exec_lo, s2
.LBB0_10:
	s_wait_loadcnt 0xc
	v_dual_sub_f32 v7, v5, v7 :: v_dual_sub_f32 v36, v4, v2
	v_sub_f32_e32 v35, v6, v8
	s_wait_loadcnt 0x8
	v_dual_sub_f32 v1, v3, v1 :: v_dual_sub_f32 v40, v12, v10
	s_wait_loadcnt 0x6
	v_dual_sub_f32 v39, v14, v16 :: v_dual_sub_f32 v34, v32, v34
	v_fma_f32 v38, v4, 2.0, -v36
	v_sub_f32_e32 v4, v11, v9
	v_fma_f32 v41, v12, 2.0, -v40
	s_wait_loadcnt 0x2
	v_sub_f32_e32 v12, v23, v29
	v_fma_f32 v2, v5, 2.0, -v7
	v_dual_sub_f32 v5, v13, v15 :: v_dual_sub_f32 v8, v31, v33
	v_fma_f32 v9, v11, 2.0, -v4
	v_sub_f32_e32 v11, v27, v19
	v_sub_f32_e32 v19, v28, v20
	;; [unrolled: 1-line block ×3, first 2 shown]
	v_fma_f32 v33, v14, 2.0, -v39
	v_fma_f32 v14, v23, 2.0, -v12
	v_mul_u32_u24_e32 v16, 0x198, v96
	v_lshlrev_b32_e32 v23, 2, v95
	s_wait_loadcnt 0x0
	v_sub_f32_e32 v15, v17, v21
	v_sub_f32_e32 v21, v18, v22
	v_mul_i32_i24_e32 v22, 0x198, v98
	v_fma_f32 v37, v6, 2.0, -v35
	v_fma_f32 v6, v13, 2.0, -v5
	;; [unrolled: 1-line block ×5, first 2 shown]
	v_mul_i32_i24_e32 v24, 0x198, v97
	v_mul_i32_i24_e32 v30, 0x198, v99
	v_fma_f32 v10, v31, 2.0, -v8
	v_add3_u32 v31, 0, v16, v23
	v_fma_f32 v3, v3, 2.0, -v1
	v_add3_u32 v22, 0, v22, v23
	;; [unrolled: 2-line block ×3, first 2 shown]
	v_add3_u32 v30, 0, v30, v23
	ds_store_2addr_b32 v31, v2, v7 offset1:51
	ds_store_2addr_b32 v22, v3, v1 offset1:51
	;; [unrolled: 1-line block ×4, first 2 shown]
	v_mul_u32_u24_e32 v5, 0xcc, v96
	v_mul_i32_i24_e32 v1, 0x198, v42
	v_mul_i32_i24_e32 v2, 0x198, v47
	;; [unrolled: 1-line block ×4, first 2 shown]
	v_add3_u32 v43, 0, v5, v23
	v_add3_u32 v50, 0, v1, v23
	v_mul_i32_i24_e32 v5, 0xcc, v99
	v_mul_i32_i24_e32 v6, 0xcc, v42
	v_add3_u32 v51, 0, v2, v23
	v_add_nc_u32_e32 v56, 0x2fd0, v43
	v_add_nc_u32_e32 v54, 0x1fe0, v43
	v_add3_u32 v52, 0, v3, v23
	v_mul_i32_i24_e32 v3, 0xcc, v98
	v_add3_u32 v53, 0, v4, v23
	v_mul_i32_i24_e32 v4, 0xcc, v97
	v_fma_f32 v17, v17, 2.0, -v15
	ds_store_2addr_b32 v50, v10, v8 offset1:51
	ds_store_2addr_b32 v51, v13, v11 offset1:51
	;; [unrolled: 1-line block ×4, first 2 shown]
	global_wb scope:SCOPE_SE
	s_wait_dscnt 0x0
	s_barrier_signal -1
	s_barrier_wait -1
	global_inv scope:SCOPE_SE
	ds_load_2addr_b32 v[1:2], v54 offset1:255
	v_add_nc_u32_e32 v55, 0x27d8, v43
	v_add3_u32 v44, 0, v5, v23
	v_add3_u32 v24, 0, v6, v23
	v_mul_i32_i24_e32 v5, 0xcc, v47
	v_mul_i32_i24_e32 v6, 0xcc, v48
	v_add_nc_u32_e32 v57, 0x37c8, v43
	v_mul_i32_i24_e32 v9, 0xcc, v49
	v_add3_u32 v45, 0, v3, v23
	v_add3_u32 v46, 0, v4, v23
	v_fma_f32 v18, v18, 2.0, -v21
	ds_load_2addr_b32 v[3:4], v55 offset1:255
	ds_load_2addr_b32 v[7:8], v56 offset1:255
	v_add3_u32 v58, 0, v5, v23
	v_add3_u32 v59, 0, v6, v23
	ds_load_2addr_b32 v[5:6], v57 offset1:255
	v_add3_u32 v60, 0, v9, v23
	ds_load_b32 v16, v43
	ds_load_b32 v15, v45
	;; [unrolled: 1-line block ×8, first 2 shown]
	global_wb scope:SCOPE_SE
	s_wait_dscnt 0x0
	s_barrier_signal -1
	s_barrier_wait -1
	global_inv scope:SCOPE_SE
	ds_store_2addr_b32 v31, v37, v35 offset1:51
	ds_store_2addr_b32 v22, v38, v36 offset1:51
	;; [unrolled: 1-line block ×8, first 2 shown]
	v_and_b32_e32 v31, 1, v96
	global_wb scope:SCOPE_SE
	s_wait_dscnt 0x0
	s_barrier_signal -1
	s_barrier_wait -1
	global_inv scope:SCOPE_SE
	v_lshlrev_b32_e32 v17, 3, v31
	v_and_b32_e32 v35, 1, v49
	v_cmp_gt_u32_e64 s2, 51, v0
                                        ; implicit-def: $vgpr102
                                        ; implicit-def: $vgpr103
                                        ; implicit-def: $vgpr105
                                        ; implicit-def: $vgpr106
	global_load_b64 v[17:18], v17, s[14:15]
	v_and_b32_e32 v32, 1, v98
	v_lshlrev_b32_e32 v29, 3, v35
	s_delay_alu instid0(VALU_DEP_2) | instskip(SKIP_2) | instid1(VALU_DEP_1)
	v_lshlrev_b32_e32 v19, 3, v32
	global_load_b64 v[19:20], v19, s[14:15]
	v_and_b32_e32 v33, 1, v99
	v_lshlrev_b32_e32 v21, 3, v33
	global_load_b64 v[21:22], v21, s[14:15]
	v_and_b32_e32 v34, 1, v47
	v_lshlrev_b32_e32 v36, 1, v96
	v_lshlrev_b32_e32 v37, 1, v98
	;; [unrolled: 1-line block ×6, first 2 shown]
	v_and_b32_e32 v48, 3, v96
	v_and_or_b32 v32, 0x1ffc, v37, v32
	s_wait_loadcnt 0x2
	v_mul_f32_e32 v71, v1, v18
	v_lshlrev_b32_e32 v27, 3, v34
	s_clause 0x1
	global_load_b64 v[27:28], v27, s[14:15]
	global_load_b64 v[29:30], v29, s[14:15]
	v_lshlrev_b32_e32 v39, 1, v99
	v_lshlrev_b32_e32 v47, 1, v49
	v_and_or_b32 v34, 0x1ffc, v41, v34
	v_mul_f32_e32 v74, v3, v18
	v_and_or_b32 v36, v36, 12, v31
	v_and_or_b32 v37, 0x1ffc, v38, v31
	;; [unrolled: 1-line block ×5, first 2 shown]
	v_mul_f32_e32 v77, v7, v18
	v_and_or_b32 v31, 0x1ffc, v42, v31
	v_mul_u32_u24_e32 v39, 3, v48
	v_mul_u32_u24_e32 v42, 0xcc, v36
	;; [unrolled: 1-line block ×9, first 2 shown]
	ds_load_2addr_b32 v[31:32], v54 offset1:255
	ds_load_2addr_b32 v[33:34], v55 offset1:255
	;; [unrolled: 1-line block ×4, first 2 shown]
	ds_load_b32 v54, v43
	ds_load_b32 v55, v45
	;; [unrolled: 1-line block ×8, first 2 shown]
	global_wb scope:SCOPE_SE
	s_wait_loadcnt_dscnt 0x0
	s_barrier_signal -1
	s_barrier_wait -1
	global_inv scope:SCOPE_SE
	v_mul_f32_e32 v70, v31, v18
	v_mul_f32_e32 v72, v32, v20
	v_dual_mul_f32 v20, v2, v20 :: v_dual_mul_f32 v73, v33, v18
	v_mul_f32_e32 v75, v34, v22
	v_mul_f32_e32 v22, v4, v22
	;; [unrolled: 1-line block ×5, first 2 shown]
	v_fmac_f32_e32 v70, v1, v17
	v_fma_f32 v1, v31, v17, -v71
	v_fmac_f32_e32 v72, v2, v19
	v_fma_f32 v2, v32, v19, -v20
	;; [unrolled: 2-line block ×5, first 2 shown]
	v_and_b32_e32 v50, 3, v97
	v_dual_fmac_f32 v79, v5, v17 :: v_dual_add_nc_u32 v64, 0x1be4, v43
	v_dual_sub_f32 v1, v54, v1 :: v_dual_add_nc_u32 v66, 0x13ec, v43
	v_fma_f32 v5, v37, v17, -v18
	v_sub_f32_e32 v17, v16, v70
	v_dual_sub_f32 v18, v15, v72 :: v_dual_and_b32 v51, 3, v99
	v_dual_sub_f32 v2, v55, v2 :: v_dual_add_nc_u32 v65, 0x2bd4, v43
	v_dual_sub_f32 v19, v14, v73 :: v_dual_add_nc_u32 v68, 0x33cc, v43
	;; [unrolled: 1-line block ×3, first 2 shown]
	v_dual_sub_f32 v20, v13, v75 :: v_dual_sub_f32 v21, v12, v76
	v_add3_u32 v42, 0, v42, v23
	v_fma_f32 v16, v16, 2.0, -v17
	v_fma_f32 v31, v54, 2.0, -v1
	v_add3_u32 v47, 0, v47, v23
	v_fma_f32 v15, v15, 2.0, -v18
	v_fma_f32 v32, v55, 2.0, -v2
	v_add3_u32 v48, 0, v48, v23
	v_fma_f32 v14, v14, 2.0, -v19
	v_mul_u32_u24_e32 v41, 3, v50
	v_add3_u32 v52, 0, v52, v23
	v_fma_f32 v13, v13, 2.0, -v20
	v_fma_f32 v34, v57, 2.0, -v4
	v_add3_u32 v53, 0, v53, v23
	v_fma_f32 v12, v12, 2.0, -v21
	v_add3_u32 v61, 0, v61, v23
	v_add3_u32 v62, 0, v62, v23
	;; [unrolled: 1-line block ×3, first 2 shown]
	v_sub_f32_e32 v3, v56, v3
	s_delay_alu instid0(VALU_DEP_1) | instskip(SKIP_4) | instid1(VALU_DEP_4)
	v_fma_f32 v33, v56, 2.0, -v3
	v_mul_f32_e32 v78, v36, v28
	v_mul_f32_e32 v80, v38, v30
	v_dual_mul_f32 v28, v8, v28 :: v_dual_and_b32 v49, 3, v98
	v_mul_f32_e32 v30, v6, v30
	v_fmac_f32_e32 v78, v8, v27
	s_delay_alu instid0(VALU_DEP_4) | instskip(NEXT) | instid1(VALU_DEP_4)
	v_fmac_f32_e32 v80, v6, v29
	v_mul_u32_u24_e32 v40, 3, v49
	v_fma_f32 v8, v36, v27, -v28
	v_fma_f32 v6, v38, v29, -v30
	v_sub_f32_e32 v7, v69, v7
	v_dual_sub_f32 v22, v11, v78 :: v_dual_lshlrev_b32 v39, 3, v39
	v_lshlrev_b32_e32 v40, 3, v40
	v_sub_f32_e32 v8, v58, v8
	v_dual_sub_f32 v27, v10, v79 :: v_dual_sub_f32 v28, v9, v80
	v_dual_sub_f32 v5, v59, v5 :: v_dual_sub_f32 v6, v60, v6
	v_fma_f32 v35, v69, 2.0, -v7
	v_fma_f32 v11, v11, 2.0, -v22
	;; [unrolled: 1-line block ×7, first 2 shown]
	ds_store_2addr_b32 v42, v16, v17 offset1:102
	ds_store_2addr_b32 v47, v15, v18 offset1:102
	;; [unrolled: 1-line block ×8, first 2 shown]
	global_wb scope:SCOPE_SE
	s_wait_dscnt 0x0
	s_barrier_signal -1
	s_barrier_wait -1
	global_inv scope:SCOPE_SE
	ds_load_b32 v69, v43
	ds_load_2addr_b32 v[21:22], v64 offset1:255
	ds_load_2addr_b32 v[17:18], v65 offset1:255
	;; [unrolled: 1-line block ×5, first 2 shown]
	ds_load_b32 v70, v24
	ds_load_b32 v71, v44
	;; [unrolled: 1-line block ×4, first 2 shown]
	ds_load_b32 v74, v43 offset:15300
	global_wb scope:SCOPE_SE
	s_wait_dscnt 0x0
	s_barrier_signal -1
	s_barrier_wait -1
	global_inv scope:SCOPE_SE
	ds_store_2addr_b32 v42, v31, v1 offset1:102
	ds_store_2addr_b32 v47, v32, v2 offset1:102
	;; [unrolled: 1-line block ×8, first 2 shown]
	v_mul_u32_u24_e32 v1, 3, v51
	global_wb scope:SCOPE_SE
	s_wait_dscnt 0x0
	s_barrier_signal -1
	s_barrier_wait -1
	global_inv scope:SCOPE_SE
	s_clause 0x1
	global_load_b128 v[9:12], v39, s[14:15] offset:16
	global_load_b64 v[35:36], v39, s[14:15] offset:32
	v_lshlrev_b32_e32 v5, 3, v41
	s_clause 0x1
	global_load_b128 v[13:16], v40, s[14:15] offset:16
	global_load_b64 v[37:38], v40, s[14:15] offset:32
	v_lshlrev_b32_e32 v31, 3, v1
	s_clause 0x3
	global_load_b128 v[1:4], v5, s[14:15] offset:16
	global_load_b64 v[60:61], v5, s[14:15] offset:32
	global_load_b128 v[5:8], v31, s[14:15] offset:16
	global_load_b64 v[62:63], v31, s[14:15] offset:32
	v_lshlrev_b32_e32 v47, 2, v96
	v_lshlrev_b32_e32 v107, 2, v98
	;; [unrolled: 1-line block ×4, first 2 shown]
	ds_load_b32 v75, v24
	v_or_b32_e32 v31, v47, v96
	v_and_or_b32 v32, 0x3ff0, v107, v49
	v_and_or_b32 v33, 0x3ff0, v104, v50
	;; [unrolled: 1-line block ×3, first 2 shown]
	s_delay_alu instid0(VALU_DEP_4) | instskip(NEXT) | instid1(VALU_DEP_4)
	v_and_b32_e32 v31, 19, v31
	v_mul_u32_u24_e32 v32, 0xcc, v32
	s_delay_alu instid0(VALU_DEP_4) | instskip(NEXT) | instid1(VALU_DEP_4)
	v_mul_u32_u24_e32 v33, 0xcc, v33
	v_mul_u32_u24_e32 v34, 0xcc, v34
	s_delay_alu instid0(VALU_DEP_4) | instskip(NEXT) | instid1(VALU_DEP_4)
	v_mul_u32_u24_e32 v31, 0xcc, v31
	v_add3_u32 v50, 0, v32, v23
	s_delay_alu instid0(VALU_DEP_4) | instskip(NEXT) | instid1(VALU_DEP_4)
	v_add3_u32 v42, 0, v33, v23
	v_add3_u32 v41, 0, v34, v23
	s_delay_alu instid0(VALU_DEP_4)
	v_add3_u32 v51, 0, v31, v23
	ds_load_2addr_b32 v[33:34], v64 offset1:255
	ds_load_2addr_b32 v[23:24], v65 offset1:255
	;; [unrolled: 1-line block ×5, first 2 shown]
	ds_load_b32 v58, v43
	ds_load_b32 v56, v44
	;; [unrolled: 1-line block ×4, first 2 shown]
	ds_load_b32 v68, v43 offset:15300
	v_add_nc_u32_e32 v39, 0xcc0, v43
	v_add_nc_u32_e32 v40, 0x1980, v43
	;; [unrolled: 1-line block ×8, first 2 shown]
	global_wb scope:SCOPE_SE
	s_wait_loadcnt_dscnt 0x0
	s_barrier_signal -1
	s_barrier_wait -1
	global_inv scope:SCOPE_SE
	v_mul_f32_e32 v76, v75, v10
	v_mul_f32_e32 v10, v70, v10
	;; [unrolled: 1-line block ×4, first 2 shown]
	v_dual_mul_f32 v36, v18, v36 :: v_dual_mul_f32 v79, v64, v14
	v_mul_f32_e32 v14, v27, v14
	v_dual_mul_f32 v80, v31, v16 :: v_dual_mul_f32 v81, v66, v38
	v_dual_mul_f32 v38, v29, v38 :: v_dual_mul_f32 v83, v32, v4
	v_mul_f32_e32 v82, v65, v2
	v_mul_f32_e32 v2, v28, v2
	;; [unrolled: 1-line block ×6, first 2 shown]
	v_dual_mul_f32 v86, v23, v8 :: v_dual_mul_f32 v87, v68, v63
	v_dual_mul_f32 v63, v74, v63 :: v_dual_fmac_f32 v82, v28, v1
	v_dual_fmac_f32 v78, v18, v35 :: v_dual_fmac_f32 v81, v29, v37
	v_fma_f32 v18, v24, v35, -v36
	v_fma_f32 v29, v66, v37, -v38
	;; [unrolled: 1-line block ×3, first 2 shown]
	v_dual_fmac_f32 v76, v70, v9 :: v_dual_fmac_f32 v83, v20, v3
	v_fma_f32 v24, v75, v9, -v10
	v_fmac_f32_e32 v77, v22, v11
	v_dual_fmac_f32 v80, v19, v15 :: v_dual_fmac_f32 v85, v21, v5
	v_dual_fmac_f32 v79, v27, v13 :: v_dual_fmac_f32 v84, v30, v60
	v_fma_f32 v13, v65, v1, -v2
	v_fma_f32 v27, v67, v60, -v61
	;; [unrolled: 1-line block ×3, first 2 shown]
	v_dual_fmac_f32 v86, v17, v7 :: v_dual_fmac_f32 v87, v74, v62
	v_fma_f32 v6, v68, v62, -v63
	v_sub_f32_e32 v10, v76, v78
	v_sub_f32_e32 v28, v69, v77
	v_dual_sub_f32 v60, v24, v18 :: v_dual_sub_f32 v1, v79, v81
	v_dual_sub_f32 v30, v73, v80 :: v_dual_sub_f32 v33, v14, v29
	;; [unrolled: 1-line block ×3, first 2 shown]
	v_sub_f32_e32 v21, v13, v27
	s_delay_alu instid0(VALU_DEP_4) | instskip(NEXT) | instid1(VALU_DEP_4)
	v_dual_sub_f32 v27, v71, v86 :: v_dual_add_f32 v36, v28, v60
	v_dual_sub_f32 v18, v9, v6 :: v_dual_add_f32 v61, v30, v33
	v_sub_f32_e32 v5, v85, v87
	v_fma_f32 v6, v69, 2.0, -v28
	v_fma_f32 v35, v76, 2.0, -v10
	s_delay_alu instid0(VALU_DEP_4)
	v_add_f32_e32 v100, v27, v18
	v_fma_f32 v37, v73, 2.0, -v30
	v_fma_f32 v38, v79, 2.0, -v1
	;; [unrolled: 1-line block ×6, first 2 shown]
	v_dual_add_f32 v64, v29, v21 :: v_dual_sub_f32 v35, v6, v35
	s_delay_alu instid0(VALU_DEP_4) | instskip(NEXT) | instid1(VALU_DEP_3)
	v_dual_sub_f32 v38, v37, v38 :: v_dual_sub_f32 v63, v62, v63
	v_sub_f32_e32 v66, v65, v66
	v_fma_f32 v28, v28, 2.0, -v36
	s_delay_alu instid0(VALU_DEP_4)
	v_fma_f32 v6, v6, 2.0, -v35
	v_fma_f32 v30, v30, 2.0, -v61
	v_fma_f32 v37, v37, 2.0, -v38
	v_fma_f32 v29, v29, 2.0, -v64
	v_fma_f32 v27, v27, 2.0, -v100
	v_fma_f32 v62, v62, 2.0, -v63
	v_fma_f32 v65, v65, 2.0, -v66
	ds_store_2addr_b32 v55, v35, v36 offset0:24 offset1:228
	ds_store_2addr_b32 v51, v6, v28 offset1:204
	ds_store_2addr_b32 v50, v37, v30 offset1:204
	ds_store_2addr_b32 v52, v38, v61 offset0:24 offset1:228
	ds_store_2addr_b32 v42, v62, v29 offset1:204
	ds_store_2addr_b32 v53, v63, v64 offset0:24 offset1:228
	;; [unrolled: 2-line block ×3, first 2 shown]
	global_wb scope:SCOPE_SE
	s_wait_dscnt 0x0
	s_barrier_signal -1
	s_barrier_wait -1
	global_inv scope:SCOPE_SE
	ds_load_2addr_b32 v[37:38], v39 offset1:255
	ds_load_2addr_b32 v[35:36], v40 offset1:255
	;; [unrolled: 1-line block ×4, first 2 shown]
	ds_load_b32 v117, v43
	ds_load_b32 v122, v43 offset:5304
	ds_load_b32 v121, v43 offset:8568
	;; [unrolled: 1-line block ×3, first 2 shown]
	ds_load_b32 v112, v46
	ds_load_b32 v113, v45
	ds_load_b32 v120, v43 offset:15096
	v_lshl_add_u32 v6, v95, 2, 0
	s_and_saveexec_b32 s16, s2
	s_cbranch_execz .LBB0_12
; %bb.11:
	ds_load_b32 v100, v44
	ds_load_b32 v106, v6 offset:6324
	ds_load_b32 v105, v6 offset:9588
	;; [unrolled: 1-line block ×4, first 2 shown]
.LBB0_12:
	s_wait_alu 0xfffe
	s_or_b32 exec_lo, exec_lo, s16
	v_mul_f32_e32 v4, v20, v4
	v_fma_f32 v14, v14, 2.0, -v33
	v_fma_f32 v13, v13, 2.0, -v21
	global_wb scope:SCOPE_SE
	s_wait_dscnt 0x0
	s_barrier_signal -1
	v_fma_f32 v3, v32, v3, -v4
	v_mul_f32_e32 v12, v22, v12
	s_barrier_wait -1
	global_inv scope:SCOPE_SE
                                        ; implicit-def: $vgpr109
                                        ; implicit-def: $vgpr108
                                        ; implicit-def: $vgpr110
                                        ; implicit-def: $vgpr111
	v_sub_f32_e32 v3, v57, v3
	v_fma_f32 v11, v34, v11, -v12
	v_mul_f32_e32 v16, v19, v16
	s_delay_alu instid0(VALU_DEP_2) | instskip(NEXT) | instid1(VALU_DEP_2)
	v_dual_sub_f32 v2, v3, v2 :: v_dual_sub_f32 v11, v58, v11
	v_fma_f32 v12, v31, v15, -v16
	v_fma_f32 v15, v24, 2.0, -v60
	v_fma_f32 v16, v57, 2.0, -v3
	s_delay_alu instid0(VALU_DEP_4) | instskip(SKIP_2) | instid1(VALU_DEP_4)
	v_fma_f32 v3, v3, 2.0, -v2
	v_sub_f32_e32 v10, v11, v10
	v_sub_f32_e32 v12, v59, v12
	v_dual_mul_f32 v8, v17, v8 :: v_dual_sub_f32 v13, v16, v13
	s_delay_alu instid0(VALU_DEP_2) | instskip(NEXT) | instid1(VALU_DEP_2)
	v_sub_f32_e32 v1, v12, v1
	v_fma_f32 v4, v23, v7, -v8
	v_fma_f32 v8, v58, 2.0, -v11
	v_fma_f32 v7, v9, 2.0, -v18
	;; [unrolled: 1-line block ×3, first 2 shown]
	s_delay_alu instid0(VALU_DEP_4) | instskip(NEXT) | instid1(VALU_DEP_4)
	v_sub_f32_e32 v4, v56, v4
	v_sub_f32_e32 v15, v8, v15
	v_fma_f32 v9, v59, 2.0, -v12
	s_delay_alu instid0(VALU_DEP_3) | instskip(NEXT) | instid1(VALU_DEP_3)
	v_fma_f32 v17, v56, 2.0, -v4
	v_fma_f32 v8, v8, 2.0, -v15
	s_delay_alu instid0(VALU_DEP_3) | instskip(SKIP_1) | instid1(VALU_DEP_4)
	v_dual_sub_f32 v14, v9, v14 :: v_dual_sub_f32 v101, v4, v5
	v_fma_f32 v5, v12, 2.0, -v1
	v_sub_f32_e32 v7, v17, v7
	v_fma_f32 v12, v16, 2.0, -v13
	s_delay_alu instid0(VALU_DEP_4) | instskip(SKIP_1) | instid1(VALU_DEP_4)
	v_fma_f32 v9, v9, 2.0, -v14
	v_fma_f32 v4, v4, 2.0, -v101
	;; [unrolled: 1-line block ×3, first 2 shown]
	ds_store_2addr_b32 v51, v8, v11 offset1:204
	ds_store_2addr_b32 v55, v15, v10 offset0:24 offset1:228
	ds_store_2addr_b32 v50, v9, v5 offset1:204
	ds_store_2addr_b32 v52, v14, v1 offset0:24 offset1:228
	;; [unrolled: 2-line block ×4, first 2 shown]
	global_wb scope:SCOPE_SE
	s_wait_dscnt 0x0
	s_barrier_signal -1
	s_barrier_wait -1
	global_inv scope:SCOPE_SE
	ds_load_2addr_b32 v[41:42], v39 offset1:255
	ds_load_2addr_b32 v[39:40], v40 offset1:255
	;; [unrolled: 1-line block ×4, first 2 shown]
	ds_load_b32 v114, v46
	ds_load_b32 v118, v43
	ds_load_b32 v126, v43 offset:5304
	ds_load_b32 v125, v43 offset:8568
	;; [unrolled: 1-line block ×3, first 2 shown]
	ds_load_b32 v116, v45
	ds_load_b32 v124, v43 offset:15096
	s_and_saveexec_b32 s16, s2
	s_cbranch_execz .LBB0_14
; %bb.13:
	ds_load_b32 v101, v44
	ds_load_b32 v111, v6 offset:6324
	ds_load_b32 v110, v6 offset:9588
	;; [unrolled: 1-line block ×4, first 2 shown]
.LBB0_14:
	s_wait_alu 0xfffe
	s_or_b32 exec_lo, exec_lo, s16
	v_and_b32_e32 v1, 28, v47
	v_and_b32_e32 v2, 60, v107
	s_load_b64 s[0:1], s[0:1], 0x8
	v_mul_lo_u32 v43, v25, v96
	v_or_b32_e32 v22, 16, v96
	v_lshlrev_b32_e32 v1, 3, v1
	v_lshlrev_b32_e32 v2, 3, v2
	v_or_b32_e32 v44, 32, v96
	v_or_b32_e32 v46, 64, v96
	v_mul_lo_u32 v47, v25, v22
	s_clause 0x3
	global_load_b128 v[13:16], v1, s[14:15] offset:112
	global_load_b128 v[9:12], v2, s[14:15] offset:112
	;; [unrolled: 1-line block ×4, first 2 shown]
	v_and_b32_e32 v48, 0xff, v43
	v_or_b32_e32 v45, 48, v96
	v_lshrrev_b32_e32 v49, 5, v43
	v_mul_lo_u32 v44, v25, v44
	v_mul_lo_u32 v60, v25, v46
	v_and_b32_e32 v59, 15, v98
	v_and_b32_e32 v46, 0xff, v47
	v_mul_lo_u32 v45, v25, v45
	v_and_b32_e32 v51, 0x7f8, v49
	v_lshrrev_b32_e32 v53, 5, v47
	v_lshrrev_b32_e32 v43, 13, v43
	;; [unrolled: 1-line block ×3, first 2 shown]
	s_and_not1_b32 vcc_lo, exec_lo, s3
	s_delay_alu instid0(VALU_DEP_3)
	v_and_b32_e32 v55, 0x7f8, v53
	v_and_b32_e32 v58, 0xff, v45
	s_wait_loadcnt_dscnt 0x309
	v_dual_mul_f32 v128, v39, v16 :: v_dual_and_b32 v43, 0x7f8, v43
	v_and_b32_e32 v17, 60, v104
	v_mul_f32_e32 v127, v41, v14
	v_mul_f32_e32 v14, v37, v14
	s_wait_loadcnt 0x2
	v_dual_mul_f32 v129, v42, v10 :: v_dual_fmac_f32 v128, v35, v15
	v_dual_mul_f32 v16, v35, v16 :: v_dual_lshlrev_b32 v21, 3, v17
	s_delay_alu instid0(VALU_DEP_2)
	v_dual_fmac_f32 v129, v38, v9 :: v_dual_lshlrev_b32 v48, 3, v48
	v_fmac_f32_e32 v127, v37, v13
	s_clause 0x1
	global_load_b128 v[17:20], v21, s[14:15] offset:112
	global_load_b128 v[21:24], v21, s[14:15] offset:128
	v_fma_f32 v13, v41, v13, -v14
	v_fma_f32 v14, v39, v15, -v16
	v_mul_f32_e32 v10, v38, v10
	s_wait_kmcnt 0x0
	s_clause 0x1
	global_load_b64 v[49:50], v48, s[0:1]
	global_load_b64 v[51:52], v51, s[0:1] offset:2048
	v_mul_f32_e32 v15, v40, v12
	v_and_b32_e32 v48, 0xff, v44
	v_lshlrev_b32_e32 v46, 3, v46
	s_clause 0x1
	global_load_b64 v[53:54], v46, s[0:1]
	global_load_b64 v[55:56], v55, s[0:1] offset:2048
	v_and_b32_e32 v46, 0x7f8, v57
	v_lshrrev_b32_e32 v57, 5, v45
	v_dual_fmac_f32 v15, v36, v11 :: v_dual_lshlrev_b32 v48, 3, v48
	v_mul_f32_e32 v12, v36, v12
	v_mul_lo_u32 v65, v25, v59
	v_and_b32_e32 v66, 0xff, v60
	v_lshlrev_b32_e32 v58, 3, v58
	s_clause 0x1
	global_load_b64 v[61:62], v48, s[0:1]
	global_load_b64 v[63:64], v46, s[0:1] offset:2048
	v_and_b32_e32 v46, 0x7f8, v57
	v_lshrrev_b32_e32 v48, 5, v60
	v_lshlrev_b32_e32 v66, 3, v66
	s_clause 0x1
	global_load_b64 v[69:70], v58, s[0:1]
	global_load_b64 v[71:72], v46, s[0:1] offset:2048
	v_and_b32_e32 v57, 0xff, v65
	v_and_b32_e32 v46, 0x7f8, v48
	v_lshrrev_b32_e32 v48, 5, v65
	s_clause 0x1
	global_load_b64 v[67:68], v66, s[0:1]
	global_load_b64 v[75:76], v46, s[0:1] offset:2048
	v_lshlrev_b32_e32 v57, 3, v57
	v_and_b32_e32 v46, 0x7f8, v48
	v_fma_f32 v11, v40, v11, -v12
	s_wait_loadcnt_dscnt 0xd07
	v_mul_f32_e32 v12, v31, v8
	s_clause 0x1
	global_load_b64 v[73:74], v57, s[0:1]
	global_load_b64 v[77:78], v46, s[0:1] offset:2048
	v_mul_f32_e32 v8, v27, v8
	global_load_b64 v[57:58], v43, s[0:1] offset:4096
	v_lshrrev_b32_e32 v43, 13, v47
	v_lshrrev_b32_e32 v45, 13, v45
	;; [unrolled: 1-line block ×4, first 2 shown]
	v_fmac_f32_e32 v12, v27, v7
	v_and_b32_e32 v43, 0x7f8, v43
	v_and_b32_e32 v47, 0x7f8, v45
	;; [unrolled: 1-line block ×4, first 2 shown]
	v_lshrrev_b32_e32 v65, 13, v65
	s_clause 0x3
	global_load_b64 v[45:46], v43, s[0:1] offset:4096
	global_load_b64 v[43:44], v47, s[0:1] offset:4096
	;; [unrolled: 1-line block ×4, first 2 shown]
	v_and_b32_e32 v60, 0x7f8, v65
	v_or_b32_e32 v65, 32, v59
	v_or_b32_e32 v66, 48, v59
	v_fma_f32 v27, v31, v7, -v8
	v_fma_f32 v9, v42, v9, -v10
	global_load_b64 v[89:90], v60, s[0:1] offset:4096
	v_or_b32_e32 v60, 16, v59
	v_mul_lo_u32 v65, v25, v65
	v_mul_lo_u32 v66, v25, v66
	v_or_b32_e32 v59, 64, v59
	s_delay_alu instid0(VALU_DEP_4) | instskip(NEXT) | instid1(VALU_DEP_2)
	v_mul_lo_u32 v60, v25, v60
	v_mul_lo_u32 v59, v25, v59
	v_and_b32_e32 v83, 0xff, v65
	v_and_b32_e32 v85, 0xff, v66
	v_lshrrev_b32_e32 v84, 5, v65
	v_lshrrev_b32_e32 v86, 5, v66
	v_and_b32_e32 v81, 0xff, v60
	v_lshrrev_b32_e32 v82, 5, v60
	v_lshrrev_b32_e32 v60, 13, v60
	v_lshlrev_b32_e32 v83, 3, v83
	v_lshlrev_b32_e32 v85, 3, v85
	;; [unrolled: 1-line block ×3, first 2 shown]
	v_and_b32_e32 v82, 0x7f8, v82
	s_clause 0x1
	global_load_b64 v[91:92], v81, s[0:1]
	global_load_b64 v[93:94], v82, s[0:1] offset:2048
	v_and_b32_e32 v60, 0x7f8, v60
	v_and_b32_e32 v84, 0x7f8, v84
	;; [unrolled: 1-line block ×3, first 2 shown]
	s_clause 0x4
	global_load_b64 v[81:82], v83, s[0:1]
	global_load_b64 v[83:84], v84, s[0:1] offset:2048
	global_load_b64 v[85:86], v85, s[0:1]
	global_load_b64 v[87:88], v87, s[0:1] offset:2048
	global_load_b64 v[37:38], v60, s[0:1] offset:4096
	v_and_b32_e32 v10, 0xff, v59
	v_lshrrev_b32_e32 v16, 5, v59
	v_lshrrev_b32_e32 v41, 13, v65
	s_delay_alu instid0(VALU_DEP_3) | instskip(NEXT) | instid1(VALU_DEP_3)
	v_lshlrev_b32_e32 v10, 3, v10
	v_and_b32_e32 v16, 0x7f8, v16
	s_clause 0x1
	global_load_b64 v[35:36], v10, s[0:1]
	global_load_b64 v[39:40], v16, s[0:1] offset:2048
	v_mul_f32_e32 v10, v33, v6
	v_mul_f32_e32 v6, v29, v6
	v_and_b32_e32 v16, 0x7f8, v41
	s_delay_alu instid0(VALU_DEP_3) | instskip(NEXT) | instid1(VALU_DEP_3)
	v_fmac_f32_e32 v10, v29, v5
	v_fma_f32 v29, v33, v5, -v6
	v_and_b32_e32 v5, 15, v97
	global_load_b64 v[41:42], v16, s[0:1] offset:4096
	s_wait_loadcnt 0x1e
	v_mul_f32_e32 v16, v34, v2
	v_mul_f32_e32 v2, v30, v2
	v_lshrrev_b32_e32 v6, 13, v66
	v_mul_lo_u32 v31, v25, v5
	s_delay_alu instid0(VALU_DEP_4) | instskip(NEXT) | instid1(VALU_DEP_4)
	v_dual_mul_f32 v33, v32, v4 :: v_dual_fmac_f32 v16, v30, v1
	v_fma_f32 v30, v34, v1, -v2
	s_delay_alu instid0(VALU_DEP_4)
	v_and_b32_e32 v1, 0x7f8, v6
	v_lshrrev_b32_e32 v6, 13, v59
	v_mul_f32_e32 v4, v28, v4
	v_fmac_f32_e32 v33, v28, v3
	v_lshrrev_b32_e32 v7, 5, v31
	v_and_b32_e32 v8, 0xff, v31
	v_and_b32_e32 v6, 0x7f8, v6
	global_load_b64 v[1:2], v1, s[0:1] offset:4096
	v_fma_f32 v28, v32, v3, -v4
	v_and_b32_e32 v7, 0x7f8, v7
	s_clause 0x1
	global_load_b64 v[59:60], v7, s[0:1] offset:2048
	global_load_b64 v[3:4], v6, s[0:1] offset:4096
	v_lshlrev_b32_e32 v6, 3, v8
	v_sub_f32_e32 v34, v128, v127
	global_load_b64 v[65:66], v6, s[0:1]
	s_wait_loadcnt_dscnt 0x2104
	v_mul_f32_e32 v7, v126, v18
	v_mul_f32_e32 v8, v122, v18
	s_wait_dscnt 0x3
	v_mul_f32_e32 v6, v125, v20
	s_delay_alu instid0(VALU_DEP_3) | instskip(NEXT) | instid1(VALU_DEP_3)
	v_dual_mul_f32 v18, v121, v20 :: v_dual_fmac_f32 v7, v122, v17
	v_fma_f32 v122, v126, v17, -v8
	s_delay_alu instid0(VALU_DEP_3)
	v_fmac_f32_e32 v6, v121, v19
	s_wait_loadcnt_dscnt 0x2002
	v_mul_f32_e32 v8, v123, v22
	v_fma_f32 v121, v125, v19, -v18
	v_sub_f32_e32 v125, v15, v129
	s_wait_dscnt 0x0
	v_dual_mul_f32 v18, v119, v22 :: v_dual_mul_f32 v17, v124, v24
	v_dual_mul_f32 v19, v120, v24 :: v_dual_fmac_f32 v8, v119, v21
	v_add_f32_e32 v22, v128, v10
	s_delay_alu instid0(VALU_DEP_3)
	v_fma_f32 v119, v123, v21, -v18
	s_wait_loadcnt 0x1e
	v_dual_mul_f32 v18, v50, v52 :: v_dual_fmac_f32 v17, v120, v23
	v_fma_f32 v120, v124, v23, -v19
	v_mul_f32_e32 v19, v49, v52
	s_wait_loadcnt 0x1c
	v_mul_f32_e32 v123, v54, v56
	v_fma_f32 v18, v49, v51, -v18
	v_mul_f32_e32 v49, v53, v56
	s_wait_loadcnt 0x1a
	v_dual_mul_f32 v56, v62, v64 :: v_dual_add_f32 v21, v117, v127
	v_fma_f32 v53, v53, v55, -v123
	s_wait_loadcnt 0x18
	v_mul_f32_e32 v123, v70, v72
	v_dual_fmac_f32 v49, v54, v55 :: v_dual_mul_f32 v54, v61, v64
	v_mul_f32_e32 v72, v69, v72
	v_sub_f32_e32 v55, v13, v14
	v_fma_f32 v56, v61, v63, -v56
	v_fma_f32 v69, v69, v71, -v123
	s_wait_loadcnt 0x16
	v_dual_fmac_f32 v54, v62, v63 :: v_dual_mul_f32 v63, v68, v76
	v_dual_fmac_f32 v72, v70, v71 :: v_dual_add_f32 v21, v21, v128
	s_wait_loadcnt 0x14
	v_dual_mul_f32 v70, v67, v76 :: v_dual_mul_f32 v123, v74, v78
	s_delay_alu instid0(VALU_DEP_3) | instskip(SKIP_1) | instid1(VALU_DEP_3)
	v_fma_f32 v67, v67, v75, -v63
	v_dual_sub_f32 v23, v127, v128 :: v_dual_sub_f32 v24, v12, v10
	v_dual_fmac_f32 v70, v68, v75 :: v_dual_mul_f32 v75, v73, v78
	v_fmac_f32_e32 v19, v50, v51
	v_add_f32_e32 v51, v14, v29
	v_dual_add_f32 v61, v13, v27 :: v_dual_sub_f32 v62, v14, v13
	v_dual_sub_f32 v71, v29, v27 :: v_dual_add_f32 v32, v127, v12
	v_add_f32_e32 v63, v15, v16
	v_fma_f32 v73, v73, v77, -v123
	v_fmac_f32_e32 v75, v74, v77
	v_add_f32_e32 v74, v129, v33
	v_sub_f32_e32 v123, v14, v29
	v_dual_add_f32 v50, v118, v13 :: v_dual_add_f32 v23, v23, v24
	v_sub_f32_e32 v52, v10, v12
	v_add_f32_e32 v76, v113, v129
	v_dual_sub_f32 v68, v129, v15 :: v_dual_sub_f32 v77, v128, v10
	v_dual_sub_f32 v13, v13, v27 :: v_dual_sub_f32 v24, v16, v33
	v_fma_f32 v22, -0.5, v22, v117
	v_sub_f32_e32 v124, v127, v12
	v_fma_f32 v51, -0.5, v51, v118
	v_add_f32_e32 v127, v9, v28
	v_dual_add_f32 v71, v62, v71 :: v_dual_sub_f32 v64, v27, v29
	v_dual_fmac_f32 v117, -0.5, v32 :: v_dual_add_f32 v32, v116, v9
	v_sub_f32_e32 v78, v33, v16
	v_sub_f32_e32 v128, v11, v9
	v_add_f32_e32 v10, v21, v10
	s_wait_loadcnt 0x13
	v_dual_mul_f32 v21, v18, v58 :: v_dual_fmac_f32 v118, -0.5, v61
	v_fma_f32 v61, -0.5, v63, v113
	v_fmac_f32_e32 v113, -0.5, v74
	v_add_f32_e32 v14, v50, v14
	v_sub_f32_e32 v50, v30, v28
	v_add_f32_e32 v34, v34, v52
	v_dual_add_f32 v55, v55, v64 :: v_dual_sub_f32 v64, v9, v11
	v_sub_f32_e32 v63, v17, v8
	v_add_f32_e32 v74, v6, v8
	v_add_f32_e32 v50, v128, v50
	v_dual_sub_f32 v128, v11, v30 :: v_dual_sub_f32 v9, v9, v28
	v_sub_f32_e32 v126, v28, v30
	v_dual_add_f32 v14, v14, v29 :: v_dual_fmamk_f32 v29, v13, 0xbf737871, v22
	v_add_f32_e32 v52, v11, v30
	v_dual_add_f32 v24, v125, v24 :: v_dual_add_f32 v125, v7, v17
	v_add_f32_e32 v11, v32, v11
	s_delay_alu instid0(VALU_DEP_4) | instskip(SKIP_2) | instid1(VALU_DEP_4)
	v_dual_fmac_f32 v29, 0xbf167918, v123 :: v_dual_add_f32 v78, v68, v78
	v_sub_f32_e32 v68, v7, v6
	v_mul_f32_e32 v32, v19, v58
	v_dual_add_f32 v11, v11, v30 :: v_dual_fmamk_f32 v30, v124, 0x3f737871, v51
	v_fmac_f32_e32 v51, 0xbf737871, v124
	v_fma_f32 v62, -0.5, v52, v116
	v_fmac_f32_e32 v116, -0.5, v127
	v_add_f32_e32 v127, v68, v63
	v_fma_f32 v68, -0.5, v74, v112
	v_fmac_f32_e32 v21, v57, v19
	v_dual_fmamk_f32 v19, v9, 0xbf737871, v61 :: v_dual_add_f32 v52, v112, v7
	v_dual_fmac_f32 v112, -0.5, v125 :: v_dual_sub_f32 v125, v122, v120
	v_dual_fmac_f32 v61, 0x3f737871, v9 :: v_dual_add_f32 v64, v64, v126
	v_fmac_f32_e32 v51, 0xbf167918, v77
	v_dual_fmamk_f32 v63, v128, 0x3f737871, v113 :: v_dual_sub_f32 v126, v15, v16
	v_add_f32_e32 v15, v76, v15
	v_dual_sub_f32 v129, v129, v33 :: v_dual_add_f32 v28, v11, v28
	s_delay_alu instid0(VALU_DEP_3)
	v_fmac_f32_e32 v63, 0xbf167918, v9
	s_wait_loadcnt 0xf
	v_mul_f32_e32 v11, v70, v80
	v_add_f32_e32 v15, v15, v16
	v_add_f32_e32 v10, v10, v12
	;; [unrolled: 1-line block ×3, first 2 shown]
	v_dual_mul_f32 v14, v53, v46 :: v_dual_fmac_f32 v29, 0x3e9e377a, v23
	s_delay_alu instid0(VALU_DEP_4) | instskip(SKIP_4) | instid1(VALU_DEP_4)
	v_add_f32_e32 v27, v15, v33
	v_fmamk_f32 v131, v126, 0xbf737871, v116
	v_dual_mul_f32 v16, v54, v48 :: v_dual_fmac_f32 v51, 0x3e9e377a, v55
	v_mul_f32_e32 v33, v56, v48
	v_fmac_f32_e32 v113, 0xbf737871, v128
	v_fmac_f32_e32 v131, 0x3f167918, v129
	v_fmamk_f32 v76, v123, 0x3f737871, v117
	v_fmac_f32_e32 v117, 0xbf737871, v123
	v_fmac_f32_e32 v61, 0x3f167918, v128
	v_dual_mul_f32 v15, v72, v44 :: v_dual_fmac_f32 v14, v45, v49
	v_fmac_f32_e32 v131, 0x3e9e377a, v50
	v_fmac_f32_e32 v22, 0x3f737871, v13
	;; [unrolled: 1-line block ×4, first 2 shown]
	v_mul_f32_e32 v13, v49, v46
	v_dual_sub_f32 v74, v121, v119 :: v_dual_fmac_f32 v113, 0x3f167918, v9
	v_mul_f32_e32 v9, v69, v44
	v_fma_f32 v18, v57, v18, -v32
	v_fmamk_f32 v32, v77, 0xbf737871, v118
	v_fma_f32 v53, v45, v53, -v13
	v_fma_f32 v45, v47, v56, -v16
	v_fmac_f32_e32 v9, v43, v72
	v_fmac_f32_e32 v33, v47, v54
	v_fma_f32 v47, v43, v69, -v15
	v_fmac_f32_e32 v117, 0x3e9e377a, v34
	v_dual_fmamk_f32 v130, v129, 0x3f737871, v62 :: v_dual_mul_f32 v15, v12, v21
	v_fmac_f32_e32 v118, 0x3f737871, v77
	s_wait_loadcnt 0xe
	v_dual_mul_f32 v48, v73, v90 :: v_dual_fmac_f32 v113, 0x3e9e377a, v24
	v_fma_f32 v43, v79, v67, -v11
	s_delay_alu instid0(VALU_DEP_3) | instskip(NEXT) | instid1(VALU_DEP_3)
	v_dual_fmac_f32 v15, v10, v18 :: v_dual_fmac_f32 v118, 0xbf167918, v124
	v_dual_mul_f32 v11, v10, v21 :: v_dual_fmac_f32 v48, v89, v75
	v_fmac_f32_e32 v19, 0xbf167918, v128
	v_or_b32_e32 v20, 16, v5
	s_delay_alu instid0(VALU_DEP_4) | instskip(NEXT) | instid1(VALU_DEP_4)
	v_fmac_f32_e32 v118, 0x3e9e377a, v71
	v_fma_f32 v16, v12, v18, -v11
	v_mul_f32_e32 v18, v117, v9
	v_mul_f32_e32 v12, v29, v14
	v_fmac_f32_e32 v62, 0xbf737871, v129
	v_mul_f32_e32 v9, v118, v9
	v_fmac_f32_e32 v30, 0x3f167918, v77
	v_dual_fmamk_f32 v57, v74, 0x3f737871, v112 :: v_dual_mul_f32 v46, v75, v90
	v_fmac_f32_e32 v63, 0x3e9e377a, v24
	s_delay_alu instid0(VALU_DEP_3) | instskip(SKIP_1) | instid1(VALU_DEP_3)
	v_dual_fmac_f32 v19, 0x3e9e377a, v78 :: v_dual_fmac_f32 v30, 0x3e9e377a, v55
	s_wait_loadcnt 0xc
	v_dual_mul_f32 v24, v92, v94 :: v_dual_fmac_f32 v57, 0xbf167918, v125
	v_mul_lo_u32 v20, v25, v20
	v_dual_mul_f32 v44, v67, v80 :: v_dual_fmac_f32 v61, 0x3e9e377a, v78
	v_mul_f32_e32 v13, v30, v14
	v_fma_f32 v14, v30, v53, -v12
	v_or_b32_e32 v30, 32, v5
	v_fmac_f32_e32 v112, 0xbf737871, v74
	v_fma_f32 v24, v91, v93, -v24
	v_dual_fmac_f32 v13, v29, v53 :: v_dual_fmac_f32 v44, v79, v70
	v_and_b32_e32 v29, 0xff, v20
	v_mul_lo_u32 v30, v25, v30
	v_fmac_f32_e32 v76, 0x3e9e377a, v34
	v_fma_f32 v21, v89, v73, -v46
	v_mul_f32_e32 v55, v28, v48
	v_lshlrev_b32_e32 v29, 3, v29
	v_dual_fmac_f32 v9, v117, v47 :: v_dual_fmac_f32 v112, 0x3f167918, v125
	v_add_f32_e32 v69, v114, v122
	v_and_b32_e32 v49, 0xff, v30
	v_dual_fmac_f32 v22, 0x3f167918, v123 :: v_dual_fmac_f32 v55, v27, v21
	s_delay_alu instid0(VALU_DEP_3) | instskip(NEXT) | instid1(VALU_DEP_2)
	v_dual_sub_f32 v70, v6, v8 :: v_dual_add_f32 v69, v69, v121
	v_dual_fmac_f32 v22, 0x3e9e377a, v23 :: v_dual_lshlrev_b32 v53, 3, v49
	v_dual_mul_f32 v23, v91, v94 :: v_dual_fmac_f32 v32, 0x3f167918, v124
	v_dual_mul_f32 v49, v51, v44 :: v_dual_fmac_f32 v62, 0xbf167918, v126
	s_delay_alu instid0(VALU_DEP_4) | instskip(NEXT) | instid1(VALU_DEP_3)
	v_add_f32_e32 v69, v69, v119
	v_dual_fmac_f32 v23, v92, v93 :: v_dual_fmac_f32 v32, 0x3e9e377a, v71
	s_delay_alu instid0(VALU_DEP_3) | instskip(NEXT) | instid1(VALU_DEP_4)
	v_dual_fmac_f32 v116, 0x3f737871, v126 :: v_dual_fmac_f32 v49, v22, v43
	v_fmac_f32_e32 v62, 0x3e9e377a, v64
	s_wait_loadcnt 0x7
	s_delay_alu instid0(VALU_DEP_3) | instskip(SKIP_3) | instid1(VALU_DEP_4)
	v_mul_f32_e32 v46, v23, v38
	v_mul_f32_e32 v38, v24, v38
	v_dual_mul_f32 v11, v32, v33 :: v_dual_fmamk_f32 v58, v125, 0xbf737871, v68
	v_fmac_f32_e32 v68, 0x3f737871, v125
	v_fma_f32 v24, v37, v24, -v46
	s_delay_alu instid0(VALU_DEP_4) | instskip(SKIP_4) | instid1(VALU_DEP_4)
	v_fmac_f32_e32 v38, v37, v23
	v_lshrrev_b32_e32 v23, 13, v30
	v_mul_f32_e32 v10, v76, v33
	v_dual_fmac_f32 v11, v76, v45 :: v_dual_fmac_f32 v58, 0xbf167918, v74
	v_mul_f32_e32 v33, v81, v84
	v_and_b32_e32 v23, 0x7f8, v23
	s_delay_alu instid0(VALU_DEP_4)
	v_fma_f32 v12, v32, v45, -v10
	v_fma_f32 v10, v118, v47, -v18
	v_lshrrev_b32_e32 v18, 13, v31
	v_lshrrev_b32_e32 v31, 5, v20
	v_dual_mul_f32 v45, v85, v88 :: v_dual_fmac_f32 v130, 0x3f167918, v126
	v_lshrrev_b32_e32 v20, 13, v20
	s_delay_alu instid0(VALU_DEP_4) | instskip(NEXT) | instid1(VALU_DEP_4)
	v_and_b32_e32 v18, 0x7f8, v18
	v_and_b32_e32 v31, 0x7f8, v31
	s_delay_alu instid0(VALU_DEP_4) | instskip(NEXT) | instid1(VALU_DEP_4)
	v_dual_fmac_f32 v45, v86, v87 :: v_dual_fmac_f32 v130, 0x3e9e377a, v64
	v_and_b32_e32 v20, 0x7f8, v20
	v_fmac_f32_e32 v68, 0x3f167918, v74
	s_clause 0x3
	global_load_b64 v[73:74], v18, s[0:1] offset:4096
	global_load_b64 v[75:76], v29, s[0:1]
	global_load_b64 v[77:78], v31, s[0:1] offset:2048
	global_load_b64 v[79:80], v20, s[0:1] offset:4096
	v_mul_f32_e32 v32, v82, v84
	s_wait_loadcnt 0x9
	v_dual_fmac_f32 v33, v82, v83 :: v_dual_mul_f32 v18, v36, v40
	v_or_b32_e32 v46, 48, v5
	v_dual_fmac_f32 v116, 0xbf167918, v129 :: v_dual_sub_f32 v31, v6, v7
	v_fma_f32 v32, v81, v83, -v32
	v_mul_f32_e32 v20, v35, v40
	v_fma_f32 v18, v35, v39, -v18
	s_wait_loadcnt 0x8
	v_mul_f32_e32 v35, v33, v42
	v_mul_lo_u32 v29, v25, v46
	v_fmac_f32_e32 v116, 0x3e9e377a, v50
	v_lshrrev_b32_e32 v50, 5, v30
	v_mul_f32_e32 v30, v32, v42
	v_fma_f32 v64, v41, v32, -v35
	v_sub_f32_e32 v32, v8, v17
	v_or_b32_e32 v5, 64, v5
	v_dual_fmac_f32 v20, v36, v39 :: v_dual_mul_f32 v35, v22, v44
	s_delay_alu instid0(VALU_DEP_3)
	v_dual_fmac_f32 v58, 0x3e9e377a, v127 :: v_dual_add_f32 v31, v31, v32
	s_wait_loadcnt 0x5
	v_dual_fmac_f32 v68, 0x3e9e377a, v127 :: v_dual_mul_f32 v127, v18, v4
	v_and_b32_e32 v36, 0xff, v29
	v_fmac_f32_e32 v30, v41, v33
	v_lshrrev_b32_e32 v33, 5, v29
	v_mul_f32_e32 v34, v86, v88
	v_add_f32_e32 v32, v52, v6
	v_and_b32_e32 v54, 0x7f8, v50
	v_mul_lo_u32 v5, v25, v5
	v_fmac_f32_e32 v127, v3, v20
	v_lshlrev_b32_e32 v36, 3, v36
	v_and_b32_e32 v33, 0x7f8, v33
	v_fma_f32 v34, v85, v87, -v34
	v_fma_f32 v50, v51, v43, -v35
	s_clause 0x4
	global_load_b64 v[81:82], v53, s[0:1]
	global_load_b64 v[83:84], v54, s[0:1] offset:2048
	global_load_b64 v[85:86], v23, s[0:1] offset:4096
	global_load_b64 v[87:88], v36, s[0:1]
	global_load_b64 v[89:90], v33, s[0:1] offset:2048
	v_fmac_f32_e32 v57, 0x3e9e377a, v31
	v_dual_mul_f32 v33, v27, v48 :: v_dual_fmac_f32 v112, 0x3e9e377a, v31
	v_add_f32_e32 v31, v32, v8
	v_mul_f32_e32 v53, v131, v30
	v_mul_f32_e32 v51, v130, v38
	v_lshrrev_b32_e32 v23, 5, v5
	v_fma_f32 v56, v28, v21, -v33
	v_dual_add_f32 v67, v31, v17 :: v_dual_and_b32 v28, 60, v115
	v_sub_f32_e32 v115, v7, v17
	v_mul_f32_e32 v17, v19, v38
	v_fmac_f32_e32 v51, v19, v24
	v_add_f32_e32 v19, v121, v119
	v_dual_sub_f32 v6, v122, v121 :: v_dual_and_b32 v23, 0x7f8, v23
	s_delay_alu instid0(VALU_DEP_4) | instskip(SKIP_1) | instid1(VALU_DEP_4)
	v_fma_f32 v52, v130, v24, -v17
	v_sub_f32_e32 v17, v120, v119
	v_fma_f32 v126, -0.5, v19, v114
	v_and_b32_e32 v19, 15, v99
	global_load_b64 v[91:92], v23, s[0:1] offset:2048
	v_and_b32_e32 v22, 0xff, v5
	v_add_f32_e32 v125, v6, v17
	v_lshrrev_b32_e32 v6, 13, v29
	v_or_b32_e32 v23, 32, v19
	v_mul_f32_e32 v72, v34, v2
	v_mul_f32_e32 v2, v45, v2
	;; [unrolled: 1-line block ×3, first 2 shown]
	v_lshlrev_b32_e32 v22, 3, v22
	v_mul_lo_u32 v29, v25, v23
	v_dual_mul_f32 v8, v63, v30 :: v_dual_lshlrev_b32 v7, 3, v28
	v_fma_f32 v99, v1, v34, -v2
	v_mul_lo_u32 v17, v25, v19
	v_fma_f32 v128, v3, v18, -v4
	v_and_b32_e32 v18, 0x7f8, v6
	v_lshrrev_b32_e32 v20, 13, v5
	v_and_b32_e32 v31, 0xff, v29
	v_fma_f32 v54, v131, v64, -v8
	v_add_f32_e32 v8, v122, v120
	v_lshrrev_b32_e32 v34, 5, v29
	v_lshrrev_b32_e32 v29, 13, v29
	v_sub_f32_e32 v119, v119, v120
	v_add_f32_e32 v120, v69, v120
	v_fmac_f32_e32 v114, -0.5, v8
	s_wait_loadcnt 0xa
	v_mul_f32_e32 v69, v66, v60
	v_and_b32_e32 v29, 0x7f8, v29
	v_fmac_f32_e32 v72, v1, v45
	s_clause 0x1
	global_load_b128 v[1:4], v7, s[14:15] offset:128
	global_load_b128 v[5:8], v7, s[14:15] offset:112
	s_clause 0x1
	global_load_b64 v[93:94], v22, s[0:1]
	global_load_b64 v[117:118], v18, s[0:1] offset:4096
	v_and_b32_e32 v18, 0x7f8, v20
	v_dual_fmac_f32 v53, v63, v64 :: v_dual_and_b32 v20, 0xff, v17
	v_lshrrev_b32_e32 v21, 5, v17
	v_lshrrev_b32_e32 v17, 13, v17
	v_or_b32_e32 v22, 16, v19
	s_delay_alu instid0(VALU_DEP_4) | instskip(NEXT) | instid1(VALU_DEP_4)
	v_lshlrev_b32_e32 v20, 3, v20
	v_dual_mul_f32 v60, v65, v60 :: v_dual_and_b32 v21, 0x7f8, v21
	s_delay_alu instid0(VALU_DEP_4)
	v_and_b32_e32 v17, 0x7f8, v17
	v_fma_f32 v65, v65, v59, -v69
	v_mul_f32_e32 v69, v62, v127
	s_clause 0x3
	global_load_b64 v[123:124], v18, s[0:1] offset:4096
	global_load_b64 v[23:24], v20, s[0:1]
	global_load_b64 v[27:28], v21, s[0:1] offset:2048
	global_load_b64 v[17:18], v17, s[0:1] offset:4096
	v_or_b32_e32 v20, 48, v19
	v_or_b32_e32 v19, 64, v19
	v_mul_lo_u32 v22, v25, v22
	v_dual_fmac_f32 v60, v66, v59 :: v_dual_fmac_f32 v69, v61, v128
	s_delay_alu instid0(VALU_DEP_4) | instskip(NEXT) | instid1(VALU_DEP_4)
	v_mul_lo_u32 v33, v25, v20
	v_mul_lo_u32 v38, v25, v19
	s_delay_alu instid0(VALU_DEP_4)
	v_and_b32_e32 v21, 0xff, v22
	v_lshrrev_b32_e32 v30, 5, v22
	v_lshrrev_b32_e32 v22, 13, v22
	v_and_b32_e32 v37, 0xff, v33
	v_and_b32_e32 v39, 0xff, v38
	v_lshrrev_b32_e32 v40, 5, v38
	v_lshrrev_b32_e32 v38, 13, v38
	s_delay_alu instid0(VALU_DEP_3) | instskip(NEXT) | instid1(VALU_DEP_3)
	v_lshlrev_b32_e32 v39, 3, v39
	v_and_b32_e32 v40, 0x7f8, v40
	s_delay_alu instid0(VALU_DEP_3)
	v_and_b32_e32 v71, 0x7f8, v38
	v_lshlrev_b32_e32 v20, 3, v21
	v_and_b32_e32 v21, 0x7f8, v30
	v_dual_mul_f32 v63, v113, v72 :: v_dual_and_b32 v22, 0x7f8, v22
	s_wait_loadcnt 0x11
	v_dual_mul_f32 v59, v60, v74 :: v_dual_lshlrev_b32 v30, 3, v31
	s_clause 0x3
	global_load_b64 v[31:32], v20, s[0:1]
	global_load_b64 v[35:36], v21, s[0:1] offset:2048
	global_load_b64 v[21:22], v22, s[0:1] offset:4096
	global_load_b64 v[19:20], v30, s[0:1]
	v_and_b32_e32 v30, 0x7f8, v34
	v_lshlrev_b32_e32 v34, 3, v37
	v_lshrrev_b32_e32 v37, 5, v33
	v_lshrrev_b32_e32 v33, 13, v33
	v_mul_f32_e32 v64, v65, v74
	v_fma_f32 v65, v73, v65, -v59
	s_delay_alu instid0(VALU_DEP_4) | instskip(NEXT) | instid1(VALU_DEP_4)
	v_and_b32_e32 v37, 0x7f8, v37
	v_and_b32_e32 v33, 0x7f8, v33
	s_clause 0x7
	global_load_b64 v[47:48], v30, s[0:1] offset:2048
	global_load_b64 v[45:46], v29, s[0:1] offset:4096
	global_load_b64 v[41:42], v34, s[0:1]
	global_load_b64 v[43:44], v37, s[0:1] offset:2048
	global_load_b64 v[33:34], v33, s[0:1] offset:4096
	global_load_b64 v[37:38], v39, s[0:1]
	global_load_b64 v[39:40], v40, s[0:1] offset:2048
	global_load_b64 v[29:30], v71, s[0:1] offset:4096
	v_sub_f32_e32 v71, v121, v122
	v_fmamk_f32 v121, v115, 0x3f737871, v126
	s_delay_alu instid0(VALU_DEP_2) | instskip(NEXT) | instid1(VALU_DEP_2)
	v_add_f32_e32 v119, v71, v119
	v_fmac_f32_e32 v121, 0x3f167918, v70
	v_mul_f32_e32 v71, v116, v72
	v_fma_f32 v72, v116, v99, -v63
	s_wait_loadcnt 0x1b
	v_mul_f32_e32 v63, v75, v78
	v_dual_fmac_f32 v121, 0x3e9e377a, v125 :: v_dual_fmac_f32 v64, v73, v60
	v_fmac_f32_e32 v126, 0xbf737871, v115
	v_mul_f32_e32 v66, v76, v78
	s_delay_alu instid0(VALU_DEP_4) | instskip(NEXT) | instid1(VALU_DEP_3)
	v_dual_mul_f32 v60, v61, v127 :: v_dual_fmac_f32 v63, v76, v77
	v_dual_mul_f32 v59, v120, v64 :: v_dual_fmac_f32 v126, 0xbf167918, v70
	s_delay_alu instid0(VALU_DEP_3) | instskip(SKIP_1) | instid1(VALU_DEP_3)
	v_fma_f32 v61, v75, v77, -v66
	v_dual_fmamk_f32 v122, v70, 0xbf737871, v114 :: v_dual_fmac_f32 v71, v113, v99
	v_fmac_f32_e32 v59, v67, v65
	s_wait_loadcnt 0x1a
	s_delay_alu instid0(VALU_DEP_3)
	v_dual_fmac_f32 v126, 0x3e9e377a, v125 :: v_dual_mul_f32 v73, v61, v80
	v_fmac_f32_e32 v114, 0x3f737871, v70
	v_fma_f32 v70, v62, v128, -v60
	s_wait_loadcnt 0x15
	v_mul_f32_e32 v74, v87, v90
	v_dual_mul_f32 v60, v82, v84 :: v_dual_fmac_f32 v73, v79, v63
	v_fmac_f32_e32 v114, 0xbf167918, v115
	v_fmac_f32_e32 v122, 0x3f167918, v115
	s_delay_alu instid0(VALU_DEP_4) | instskip(SKIP_4) | instid1(VALU_DEP_4)
	v_fmac_f32_e32 v74, v88, v89
	v_mul_f32_e32 v64, v67, v64
	v_fma_f32 v67, v81, v83, -v60
	v_fmac_f32_e32 v114, 0x3e9e377a, v119
	v_dual_mul_f32 v66, v63, v80 :: v_dual_mul_f32 v63, v121, v73
	v_fma_f32 v60, v120, v65, -v64
	v_mul_f32_e32 v64, v88, v90
	v_fmac_f32_e32 v122, 0x3e9e377a, v119
	s_delay_alu instid0(VALU_DEP_4)
	v_fma_f32 v65, v79, v61, -v66
	v_mul_f32_e32 v62, v81, v84
	v_mul_f32_e32 v66, v67, v86
	v_fma_f32 v75, v87, v89, -v64
	s_wait_loadcnt 0x11
	v_dual_fmac_f32 v63, v58, v65 :: v_dual_mul_f32 v76, v93, v92
	s_delay_alu instid0(VALU_DEP_1) | instskip(SKIP_1) | instid1(VALU_DEP_1)
	v_fmac_f32_e32 v76, v94, v91
	v_fmac_f32_e32 v62, v82, v83
	v_mul_f32_e32 v61, v62, v86
	v_fmac_f32_e32 v66, v85, v62
	s_delay_alu instid0(VALU_DEP_2) | instskip(NEXT) | instid1(VALU_DEP_2)
	v_fma_f32 v67, v85, v67, -v61
	v_dual_mul_f32 v61, v94, v92 :: v_dual_mul_f32 v62, v57, v66
	s_delay_alu instid0(VALU_DEP_1) | instskip(SKIP_1) | instid1(VALU_DEP_3)
	v_fma_f32 v77, v93, v91, -v61
	v_mul_f32_e32 v61, v58, v73
	v_fma_f32 v62, v122, v67, -v62
	s_wait_loadcnt 0x10
	v_mul_f32_e32 v58, v75, v118
	s_delay_alu instid0(VALU_DEP_3) | instskip(SKIP_2) | instid1(VALU_DEP_1)
	v_fma_f32 v64, v121, v65, -v61
	s_wait_loadcnt 0xf
	v_dual_mul_f32 v61, v122, v66 :: v_dual_mul_f32 v66, v77, v124
	v_fmac_f32_e32 v61, v57, v67
	v_mul_f32_e32 v67, v76, v124
	s_delay_alu instid0(VALU_DEP_3) | instskip(NEXT) | instid1(VALU_DEP_2)
	v_fmac_f32_e32 v66, v123, v76
	v_fma_f32 v73, v123, v77, -v67
	s_delay_alu instid0(VALU_DEP_2) | instskip(SKIP_3) | instid1(VALU_DEP_4)
	v_mul_f32_e32 v67, v126, v66
	v_mul_f32_e32 v57, v74, v118
	v_fmac_f32_e32 v58, v117, v74
	v_mul_f32_e32 v74, v68, v66
	v_fmac_f32_e32 v67, v68, v73
	s_delay_alu instid0(VALU_DEP_4) | instskip(NEXT) | instid1(VALU_DEP_4)
	v_fma_f32 v57, v117, v75, -v57
	v_mul_f32_e32 v65, v114, v58
	v_mul_f32_e32 v58, v112, v58
	v_fma_f32 v68, v126, v73, -v74
	s_delay_alu instid0(VALU_DEP_3) | instskip(NEXT) | instid1(VALU_DEP_3)
	v_fmac_f32_e32 v65, v112, v57
	v_fma_f32 v66, v114, v57, -v58
	s_wait_alu 0xfffe
	s_cbranch_vccnz .LBB0_16
; %bb.15:
	v_cmp_lt_u32_e32 vcc_lo, 0x32f, v0
	s_lshl_b64 s[14:15], s[6:7], 3
	v_and_or_b32 v88, 0xc0, v107, v98
	s_add_nc_u64 s[14:15], s[12:13], s[14:15]
	s_wait_alu 0xfffd
	v_cndmask_b32_e64 v57, 0, 0x50, vcc_lo
	s_delay_alu instid0(VALU_DEP_2) | instskip(SKIP_1) | instid1(VALU_DEP_3)
	v_add_nc_u32_e32 v86, 16, v88
	v_add_nc_u32_e32 v89, 32, v88
	v_or_b32_e32 v83, v96, v57
	v_mad_co_u64_u32 v[57:58], null, s4, v95, 0
	s_delay_alu instid0(VALU_DEP_2) | instskip(SKIP_2) | instid1(VALU_DEP_4)
	v_add_nc_u32_e32 v81, 16, v83
	v_mad_co_u64_u32 v[73:74], null, s8, v83, 0
	v_or_b32_e32 v82, 32, v83
	v_mad_co_u64_u32 v[77:78], null, s5, v95, v[58:59]
	s_delay_alu instid0(VALU_DEP_4) | instskip(SKIP_1) | instid1(VALU_DEP_2)
	v_mad_co_u64_u32 v[75:76], null, s8, v81, 0
	v_add_nc_u32_e32 v84, 48, v83
	v_mad_co_u64_u32 v[78:79], null, s9, v83, v[74:75]
	v_mad_co_u64_u32 v[79:80], null, s8, v82, 0
	s_delay_alu instid0(VALU_DEP_4) | instskip(SKIP_1) | instid1(VALU_DEP_2)
	v_mov_b32_e32 v74, v76
	v_dual_mov_b32 v58, v77 :: v_dual_add_nc_u32 v83, 64, v83
	v_mad_co_u64_u32 v[76:77], null, s9, v81, v[74:75]
	s_delay_alu instid0(VALU_DEP_4) | instskip(NEXT) | instid1(VALU_DEP_3)
	v_dual_mov_b32 v77, v80 :: v_dual_mov_b32 v74, v78
	v_lshlrev_b64_e32 v[57:58], 3, v[57:58]
	s_delay_alu instid0(VALU_DEP_2) | instskip(NEXT) | instid1(VALU_DEP_3)
	v_mad_co_u64_u32 v[77:78], null, s9, v82, v[77:78]
	v_lshlrev_b64_e32 v[73:74], 3, v[73:74]
	s_delay_alu instid0(VALU_DEP_3) | instskip(SKIP_1) | instid1(VALU_DEP_4)
	v_add_co_u32 v57, vcc_lo, s14, v57
	s_wait_alu 0xfffd
	v_add_co_ci_u32_e32 v58, vcc_lo, s15, v58, vcc_lo
	v_lshlrev_b64_e32 v[75:76], 3, v[75:76]
	s_delay_alu instid0(VALU_DEP_3) | instskip(SKIP_1) | instid1(VALU_DEP_3)
	v_add_co_u32 v73, vcc_lo, v57, v73
	s_wait_alu 0xfffd
	v_add_co_ci_u32_e32 v74, vcc_lo, v58, v74, vcc_lo
	v_mad_co_u64_u32 v[81:82], null, s8, v84, 0
	s_delay_alu instid0(VALU_DEP_4)
	v_add_co_u32 v75, vcc_lo, v57, v75
	s_wait_alu 0xfffd
	v_add_co_ci_u32_e32 v76, vcc_lo, v58, v76, vcc_lo
	v_mov_b32_e32 v80, v77
	v_mad_co_u64_u32 v[77:78], null, s8, v83, 0
	s_clause 0x1
	global_store_b64 v[73:74], v[15:16], off
	global_store_b64 v[75:76], v[13:14], off
	v_lshlrev_b64_e32 v[74:75], 3, v[79:80]
	v_mov_b32_e32 v73, v82
	s_delay_alu instid0(VALU_DEP_1) | instskip(SKIP_4) | instid1(VALU_DEP_2)
	v_mad_co_u64_u32 v[79:80], null, s9, v84, v[73:74]
	v_mov_b32_e32 v73, v78
	v_add_co_u32 v74, vcc_lo, v57, v74
	s_wait_alu 0xfffd
	v_add_co_ci_u32_e32 v75, vcc_lo, v58, v75, vcc_lo
	v_mad_co_u64_u32 v[83:84], null, s9, v83, v[73:74]
	v_mad_co_u64_u32 v[84:85], null, s8, v88, 0
	v_mov_b32_e32 v82, v79
	global_store_b64 v[74:75], v[11:12], off
	v_mad_co_u64_u32 v[79:80], null, s8, v86, 0
	v_dual_mov_b32 v78, v83 :: v_dual_mov_b32 v75, v85
	v_lshlrev_b64_e32 v[73:74], 3, v[81:82]
	s_delay_alu instid0(VALU_DEP_2) | instskip(NEXT) | instid1(VALU_DEP_2)
	v_lshlrev_b64_e32 v[76:77], 3, v[77:78]
	v_add_co_u32 v73, vcc_lo, v57, v73
	s_wait_alu 0xfffd
	s_delay_alu instid0(VALU_DEP_3) | instskip(NEXT) | instid1(VALU_DEP_3)
	v_add_co_ci_u32_e32 v74, vcc_lo, v58, v74, vcc_lo
	v_mad_co_u64_u32 v[81:82], null, s9, v88, v[75:76]
	v_mov_b32_e32 v75, v80
	v_add_co_u32 v76, vcc_lo, v57, v76
	s_wait_alu 0xfffd
	v_add_co_ci_u32_e32 v77, vcc_lo, v58, v77, vcc_lo
	global_store_b64 v[73:74], v[9:10], off
	v_mad_co_u64_u32 v[82:83], null, s9, v86, v[75:76]
	v_mad_co_u64_u32 v[86:87], null, s8, v89, 0
	v_add_nc_u32_e32 v83, 48, v88
	global_store_b64 v[76:77], v[49:50], off
	v_dual_mov_b32 v85, v81 :: v_dual_mov_b32 v80, v82
	v_mad_co_u64_u32 v[76:77], null, s8, v83, 0
	v_dual_mov_b32 v75, v87 :: v_dual_add_nc_u32 v82, 64, v88
	s_delay_alu instid0(VALU_DEP_3) | instskip(NEXT) | instid1(VALU_DEP_4)
	v_lshlrev_b64_e32 v[73:74], 3, v[84:85]
	v_lshlrev_b64_e32 v[78:79], 3, v[79:80]
	v_and_or_b32 v84, 0xc0, v104, v97
	s_delay_alu instid0(VALU_DEP_4) | instskip(NEXT) | instid1(VALU_DEP_4)
	v_mad_co_u64_u32 v[80:81], null, s9, v89, v[75:76]
	v_add_co_u32 v73, vcc_lo, v57, v73
	s_wait_alu 0xfffd
	v_add_co_ci_u32_e32 v74, vcc_lo, v58, v74, vcc_lo
	v_mov_b32_e32 v75, v77
	v_add_co_u32 v77, vcc_lo, v57, v78
	v_mov_b32_e32 v87, v80
	s_wait_alu 0xfffd
	v_add_co_ci_u32_e32 v78, vcc_lo, v58, v79, vcc_lo
	global_store_b64 v[73:74], v[55:56], off
	v_add_nc_u32_e32 v85, 16, v84
	v_lshlrev_b64_e32 v[73:74], 3, v[86:87]
	v_add_nc_u32_e32 v86, 32, v84
	v_mad_co_u64_u32 v[79:80], null, s9, v83, v[75:76]
	v_mad_co_u64_u32 v[80:81], null, s8, v82, 0
	global_store_b64 v[77:78], v[51:52], off
	v_add_co_u32 v73, vcc_lo, v57, v73
	s_wait_alu 0xfffd
	v_add_co_ci_u32_e32 v74, vcc_lo, v58, v74, vcc_lo
	v_mov_b32_e32 v77, v79
	v_mov_b32_e32 v75, v81
	v_add_nc_u32_e32 v87, 64, v84
	global_store_b64 v[73:74], v[53:54], off
                                        ; kill: def $vgpr74 killed $sgpr0 killed $exec
	s_and_b32 s0, s2, exec_lo
	v_lshlrev_b64_e32 v[76:77], 3, v[76:77]
	s_delay_alu instid0(VALU_DEP_1) | instskip(SKIP_3) | instid1(VALU_DEP_4)
	v_mad_co_u64_u32 v[78:79], null, s9, v82, v[75:76]
	v_mad_co_u64_u32 v[82:83], null, s8, v84, 0
	v_add_co_u32 v75, vcc_lo, v57, v76
	s_wait_alu 0xfffd
	v_add_co_ci_u32_e32 v76, vcc_lo, v58, v77, vcc_lo
	s_delay_alu instid0(VALU_DEP_4)
	v_mov_b32_e32 v81, v78
	v_mad_co_u64_u32 v[77:78], null, s8, v85, 0
	v_mov_b32_e32 v73, v83
	global_store_b64 v[75:76], v[71:72], off
	v_lshlrev_b64_e32 v[79:80], 3, v[80:81]
	v_mad_co_u64_u32 v[73:74], null, s9, v84, v[73:74]
	v_mov_b32_e32 v74, v78
	s_delay_alu instid0(VALU_DEP_3) | instskip(SKIP_1) | instid1(VALU_DEP_4)
	v_add_co_u32 v75, vcc_lo, v57, v79
	s_wait_alu 0xfffd
	v_add_co_ci_u32_e32 v76, vcc_lo, v58, v80, vcc_lo
	s_delay_alu instid0(VALU_DEP_4) | instskip(NEXT) | instid1(VALU_DEP_3)
	v_mov_b32_e32 v83, v73
	v_mad_co_u64_u32 v[78:79], null, s9, v85, v[74:75]
	global_store_b64 v[75:76], v[69:70], off
	v_add_nc_u32_e32 v85, 48, v84
	v_lshlrev_b64_e32 v[75:76], 3, v[82:83]
	v_mad_co_u64_u32 v[73:74], null, s8, v86, 0
	v_mad_co_u64_u32 v[81:82], null, s8, v87, 0
	s_delay_alu instid0(VALU_DEP_4) | instskip(NEXT) | instid1(VALU_DEP_4)
	v_mad_co_u64_u32 v[79:80], null, s8, v85, 0
	v_add_co_u32 v75, vcc_lo, v57, v75
	v_lshlrev_b64_e32 v[77:78], 3, v[77:78]
	s_wait_alu 0xfffd
	v_add_co_ci_u32_e32 v76, vcc_lo, v58, v76, vcc_lo
	s_delay_alu instid0(VALU_DEP_3)
	v_mad_co_u64_u32 v[83:84], null, s9, v86, v[74:75]
	v_mad_co_u64_u32 v[84:85], null, s9, v85, v[80:81]
	v_mov_b32_e32 v80, v82
	v_add_co_u32 v77, vcc_lo, v57, v77
	s_wait_alu 0xfffd
	v_add_co_ci_u32_e32 v78, vcc_lo, v58, v78, vcc_lo
	v_mov_b32_e32 v74, v83
	v_mad_co_u64_u32 v[82:83], null, s9, v87, v[80:81]
	v_mov_b32_e32 v80, v84
	global_store_b64 v[75:76], v[59:60], off
	v_lshlrev_b64_e32 v[73:74], 3, v[73:74]
	global_store_b64 v[77:78], v[63:64], off
	v_lshlrev_b64_e32 v[75:76], 3, v[79:80]
	v_lshlrev_b64_e32 v[77:78], 3, v[81:82]
	v_add_co_u32 v73, vcc_lo, v57, v73
	s_wait_alu 0xfffd
	v_add_co_ci_u32_e32 v74, vcc_lo, v58, v74, vcc_lo
	s_delay_alu instid0(VALU_DEP_4)
	v_add_co_u32 v75, vcc_lo, v57, v75
	s_wait_alu 0xfffd
	v_add_co_ci_u32_e32 v76, vcc_lo, v58, v76, vcc_lo
	v_add_co_u32 v77, vcc_lo, v57, v77
	s_wait_alu 0xfffd
	v_add_co_ci_u32_e32 v78, vcc_lo, v58, v78, vcc_lo
	s_clause 0x2
	global_store_b64 v[73:74], v[61:62], off
	global_store_b64 v[75:76], v[65:66], off
	;; [unrolled: 1-line block ×3, first 2 shown]
	s_cbranch_execz .LBB0_17
	s_branch .LBB0_20
.LBB0_16:
	s_mov_b32 s0, 0
                                        ; implicit-def: $vgpr57_vgpr58
.LBB0_17:
	s_mov_b32 s1, exec_lo
                                        ; implicit-def: $vgpr57_vgpr58
	v_cmpx_gt_u64_e64 s[10:11], v[25:26]
	s_cbranch_execz .LBB0_19
; %bb.18:
	v_cmp_lt_u32_e32 vcc_lo, 0x32f, v0
	v_mad_co_u64_u32 v[25:26], null, s4, v95, 0
	s_lshl_b64 s[6:7], s[6:7], 3
	s_and_not1_b32 s0, s0, exec_lo
	s_wait_alu 0xfffd
	v_cndmask_b32_e64 v0, 0, 0x50, vcc_lo
	s_and_b32 s2, s2, exec_lo
	s_wait_alu 0xfffe
	s_or_b32 s0, s0, s2
	s_delay_alu instid0(VALU_DEP_1) | instskip(NEXT) | instid1(VALU_DEP_1)
	v_or_b32_e32 v80, v96, v0
	v_dual_mov_b32 v0, v26 :: v_dual_add_nc_u32 v79, 16, v80
	v_mad_co_u64_u32 v[57:58], null, s8, v80, 0
	s_delay_alu instid0(VALU_DEP_2) | instskip(NEXT) | instid1(VALU_DEP_3)
	v_mad_co_u64_u32 v[73:74], null, s5, v95, v[0:1]
	v_mad_co_u64_u32 v[74:75], null, s8, v79, 0
	v_or_b32_e32 v81, 32, v80
	s_add_nc_u64 s[4:5], s[12:13], s[6:7]
	s_delay_alu instid0(VALU_DEP_4) | instskip(SKIP_2) | instid1(VALU_DEP_3)
	v_mov_b32_e32 v0, v58
	v_add_nc_u32_e32 v82, 48, v80
	v_mov_b32_e32 v26, v73
	v_mad_co_u64_u32 v[76:77], null, s9, v80, v[0:1]
	v_mad_co_u64_u32 v[77:78], null, s8, v81, 0
	v_mov_b32_e32 v0, v75
	s_delay_alu instid0(VALU_DEP_4) | instskip(NEXT) | instid1(VALU_DEP_4)
	v_lshlrev_b64_e32 v[25:26], 3, v[25:26]
	v_mov_b32_e32 v58, v76
	s_delay_alu instid0(VALU_DEP_3) | instskip(SKIP_1) | instid1(VALU_DEP_3)
	v_mad_co_u64_u32 v[75:76], null, s9, v79, v[0:1]
	v_mov_b32_e32 v0, v78
	v_lshlrev_b64_e32 v[78:79], 3, v[57:58]
	s_wait_alu 0xfffe
	v_add_co_u32 v57, vcc_lo, s4, v25
	s_wait_alu 0xfffd
	v_add_co_ci_u32_e32 v58, vcc_lo, s5, v26, vcc_lo
	v_lshlrev_b64_e32 v[73:74], 3, v[74:75]
	s_delay_alu instid0(VALU_DEP_3) | instskip(SKIP_1) | instid1(VALU_DEP_3)
	v_add_co_u32 v25, vcc_lo, v57, v78
	s_wait_alu 0xfffd
	v_add_co_ci_u32_e32 v26, vcc_lo, v58, v79, vcc_lo
	v_mad_co_u64_u32 v[78:79], null, s9, v81, v[0:1]
	v_add_nc_u32_e32 v79, 64, v80
	global_store_b64 v[25:26], v[15:16], off
	v_mad_co_u64_u32 v[15:16], null, s8, v82, 0
	v_and_or_b32 v81, 0xc0, v107, v98
	v_mad_co_u64_u32 v[25:26], null, s8, v79, 0
	v_lshlrev_b64_e32 v[75:76], 3, v[77:78]
	v_add_co_u32 v73, vcc_lo, v57, v73
	v_mov_b32_e32 v0, v16
	s_wait_alu 0xfffd
	v_add_co_ci_u32_e32 v74, vcc_lo, v58, v74, vcc_lo
	v_mov_b32_e32 v16, v26
	v_add_co_u32 v75, vcc_lo, v57, v75
	v_mad_co_u64_u32 v[77:78], null, s9, v82, v[0:1]
	s_wait_loadcnt 0xc
	s_delay_alu instid0(VALU_DEP_3) | instskip(SKIP_3) | instid1(VALU_DEP_4)
	v_mad_co_u64_u32 v[78:79], null, s9, v79, v[16:17]
	v_mad_co_u64_u32 v[79:80], null, s8, v81, 0
	s_wait_alu 0xfffd
	v_add_co_ci_u32_e32 v76, vcc_lo, v58, v76, vcc_lo
	v_mov_b32_e32 v16, v77
	global_store_b64 v[73:74], v[13:14], off
	v_mov_b32_e32 v26, v78
	global_store_b64 v[75:76], v[11:12], off
	v_mov_b32_e32 v0, v80
	v_lshlrev_b64_e32 v[11:12], 3, v[15:16]
	v_add_nc_u32_e32 v16, 16, v81
	v_add_nc_u32_e32 v73, 32, v81
	s_delay_alu instid0(VALU_DEP_4) | instskip(SKIP_1) | instid1(VALU_DEP_4)
	v_mad_co_u64_u32 v[13:14], null, s9, v81, v[0:1]
	v_lshlrev_b64_e32 v[14:15], 3, v[25:26]
	v_mad_co_u64_u32 v[25:26], null, s8, v16, 0
	v_add_co_u32 v11, vcc_lo, v57, v11
	s_wait_alu 0xfffd
	v_add_co_ci_u32_e32 v12, vcc_lo, v58, v12, vcc_lo
	v_mov_b32_e32 v80, v13
	s_delay_alu instid0(VALU_DEP_4)
	v_mov_b32_e32 v0, v26
	global_store_b64 v[11:12], v[9:10], off
	v_add_co_u32 v9, vcc_lo, v57, v14
	v_lshlrev_b64_e32 v[11:12], 3, v[79:80]
	v_mad_co_u64_u32 v[13:14], null, s8, v73, 0
	s_wait_alu 0xfffd
	v_add_co_ci_u32_e32 v10, vcc_lo, v58, v15, vcc_lo
	v_mad_co_u64_u32 v[15:16], null, s9, v16, v[0:1]
	s_delay_alu instid0(VALU_DEP_4)
	v_add_co_u32 v11, vcc_lo, v57, v11
	s_wait_alu 0xfffd
	v_add_co_ci_u32_e32 v12, vcc_lo, v58, v12, vcc_lo
	v_mov_b32_e32 v0, v14
	global_store_b64 v[9:10], v[49:50], off
	v_add_nc_u32_e32 v49, 48, v81
	global_store_b64 v[11:12], v[55:56], off
	v_mov_b32_e32 v26, v15
	v_mad_co_u64_u32 v[9:10], null, s9, v73, v[0:1]
	v_add_nc_u32_e32 v55, 64, v81
	v_mad_co_u64_u32 v[15:16], null, s8, v49, 0
	s_delay_alu instid0(VALU_DEP_4) | instskip(SKIP_1) | instid1(VALU_DEP_4)
	v_lshlrev_b64_e32 v[10:11], 3, v[25:26]
	v_and_or_b32 v73, 0xc0, v104, v97
	v_mad_co_u64_u32 v[25:26], null, s8, v55, 0
	v_mov_b32_e32 v14, v9
	s_delay_alu instid0(VALU_DEP_4)
	v_add_co_u32 v9, vcc_lo, v57, v10
	v_mov_b32_e32 v0, v16
	s_wait_alu 0xfffd
	v_add_co_ci_u32_e32 v10, vcc_lo, v58, v11, vcc_lo
	v_lshlrev_b64_e32 v[11:12], 3, v[13:14]
	v_mov_b32_e32 v13, v26
	v_mad_co_u64_u32 v[49:50], null, s9, v49, v[0:1]
	global_store_b64 v[9:10], v[51:52], off
	v_add_nc_u32_e32 v51, 48, v73
	v_mad_co_u64_u32 v[13:14], null, s9, v55, v[13:14]
	v_mad_co_u64_u32 v[55:56], null, s8, v73, 0
	v_add_co_u32 v11, vcc_lo, v57, v11
	v_mov_b32_e32 v16, v49
	s_wait_alu 0xfffd
	v_add_co_ci_u32_e32 v12, vcc_lo, v58, v12, vcc_lo
	v_mov_b32_e32 v26, v13
	v_mov_b32_e32 v0, v56
	v_lshlrev_b64_e32 v[9:10], 3, v[15:16]
	global_store_b64 v[11:12], v[53:54], off
	v_add_nc_u32_e32 v16, 16, v73
	v_mad_co_u64_u32 v[11:12], null, s9, v73, v[0:1]
	v_lshlrev_b64_e32 v[12:13], 3, v[25:26]
	v_add_co_u32 v9, vcc_lo, v57, v9
	s_wait_alu 0xfffd
	v_add_co_ci_u32_e32 v10, vcc_lo, v58, v10, vcc_lo
	v_mad_co_u64_u32 v[14:15], null, s8, v16, 0
	v_mov_b32_e32 v56, v11
	v_add_co_u32 v11, vcc_lo, v57, v12
	s_wait_alu 0xfffd
	v_add_co_ci_u32_e32 v12, vcc_lo, v58, v13, vcc_lo
	v_add_nc_u32_e32 v13, 32, v73
	global_store_b64 v[9:10], v[71:72], off
	v_mov_b32_e32 v0, v15
	global_store_b64 v[11:12], v[69:70], off
	v_lshlrev_b64_e32 v[9:10], 3, v[55:56]
	v_mad_co_u64_u32 v[11:12], null, s8, v13, 0
	v_mad_co_u64_u32 v[25:26], null, s8, v51, 0
	;; [unrolled: 1-line block ×3, first 2 shown]
	v_add_nc_u32_e32 v16, 64, v73
	v_add_co_u32 v9, vcc_lo, v57, v9
	v_mov_b32_e32 v0, v12
	s_wait_alu 0xfffd
	v_add_co_ci_u32_e32 v10, vcc_lo, v58, v10, vcc_lo
	v_mad_co_u64_u32 v[49:50], null, s8, v16, 0
	s_delay_alu instid0(VALU_DEP_3)
	v_mad_co_u64_u32 v[12:13], null, s9, v13, v[0:1]
	v_mov_b32_e32 v0, v26
	global_store_b64 v[9:10], v[59:60], off
	v_lshlrev_b64_e32 v[9:10], 3, v[14:15]
	v_mov_b32_e32 v13, v50
	v_mad_co_u64_u32 v[14:15], null, s9, v51, v[0:1]
	v_lshlrev_b64_e32 v[11:12], 3, v[11:12]
	s_delay_alu instid0(VALU_DEP_4) | instskip(SKIP_2) | instid1(VALU_DEP_4)
	v_add_co_u32 v9, vcc_lo, v57, v9
	s_wait_alu 0xfffd
	v_add_co_ci_u32_e32 v10, vcc_lo, v58, v10, vcc_lo
	v_mad_co_u64_u32 v[15:16], null, s9, v16, v[13:14]
	v_mov_b32_e32 v26, v14
	v_add_co_u32 v11, vcc_lo, v57, v11
	s_wait_alu 0xfffd
	v_add_co_ci_u32_e32 v12, vcc_lo, v58, v12, vcc_lo
	global_store_b64 v[9:10], v[63:64], off
	v_mov_b32_e32 v50, v15
	v_lshlrev_b64_e32 v[9:10], 3, v[25:26]
	global_store_b64 v[11:12], v[61:62], off
	v_lshlrev_b64_e32 v[11:12], 3, v[49:50]
	v_add_co_u32 v9, vcc_lo, v57, v9
	s_wait_alu 0xfffd
	v_add_co_ci_u32_e32 v10, vcc_lo, v58, v10, vcc_lo
	s_delay_alu instid0(VALU_DEP_3)
	v_add_co_u32 v11, vcc_lo, v57, v11
	s_wait_alu 0xfffd
	v_add_co_ci_u32_e32 v12, vcc_lo, v58, v12, vcc_lo
	s_clause 0x1
	global_store_b64 v[9:10], v[65:66], off
	global_store_b64 v[11:12], v[67:68], off
.LBB0_19:
	s_or_b32 exec_lo, exec_lo, s1
.LBB0_20:
	s_and_saveexec_b32 s1, s0
	s_cbranch_execnz .LBB0_22
; %bb.21:
	s_nop 0
	s_sendmsg sendmsg(MSG_DEALLOC_VGPRS)
	s_endpgm
.LBB0_22:
	v_dual_mul_f32 v0, v111, v6 :: v_dual_mul_f32 v9, v110, v8
	v_dual_mul_f32 v10, v108, v2 :: v_dual_mul_f32 v11, v102, v4
	v_mul_f32_e32 v4, v109, v4
	s_delay_alu instid0(VALU_DEP_2) | instskip(SKIP_1) | instid1(VALU_DEP_3)
	v_dual_fmac_f32 v9, v105, v7 :: v_dual_fmac_f32 v10, v103, v1
	v_mul_f32_e32 v8, v105, v8
	v_fmac_f32_e32 v4, v102, v3
	v_fmac_f32_e32 v0, v106, v5
	v_fma_f32 v11, v109, v3, -v11
	s_delay_alu instid0(VALU_DEP_3) | instskip(SKIP_1) | instid1(VALU_DEP_4)
	v_sub_f32_e32 v15, v4, v10
	v_mul_f32_e32 v6, v106, v6
	v_sub_f32_e32 v14, v0, v9
	s_delay_alu instid0(VALU_DEP_2) | instskip(SKIP_2) | instid1(VALU_DEP_1)
	v_fma_f32 v5, v111, v5, -v6
	v_fma_f32 v6, v110, v7, -v8
	v_dual_add_f32 v7, v100, v0 :: v_dual_mul_f32 v2, v103, v2
	v_dual_add_f32 v8, v9, v10 :: v_dual_add_f32 v7, v7, v9
	s_delay_alu instid0(VALU_DEP_2) | instskip(NEXT) | instid1(VALU_DEP_2)
	v_fma_f32 v1, v108, v1, -v2
	v_dual_add_f32 v2, v7, v10 :: v_dual_add_f32 v7, v0, v4
	s_delay_alu instid0(VALU_DEP_3) | instskip(NEXT) | instid1(VALU_DEP_3)
	v_fma_f32 v12, -0.5, v8, v100
	v_dual_sub_f32 v13, v6, v1 :: v_dual_sub_f32 v8, v5, v11
	s_delay_alu instid0(VALU_DEP_3) | instskip(SKIP_2) | instid1(VALU_DEP_4)
	v_dual_add_f32 v25, v6, v1 :: v_dual_fmac_f32 v100, -0.5, v7
	v_add_f32_e32 v7, v14, v15
	v_sub_f32_e32 v15, v9, v0
	v_dual_fmamk_f32 v3, v8, 0xbf737871, v12 :: v_dual_sub_f32 v16, v10, v4
	s_delay_alu instid0(VALU_DEP_4) | instskip(SKIP_1) | instid1(VALU_DEP_3)
	v_fmamk_f32 v14, v13, 0x3f737871, v100
	v_dual_sub_f32 v9, v9, v10 :: v_dual_fmac_f32 v100, 0xbf737871, v13
	v_fmac_f32_e32 v3, 0xbf167918, v13
	v_fmac_f32_e32 v12, 0x3f737871, v8
	v_fma_f32 v25, -0.5, v25, v101
	v_sub_f32_e32 v0, v0, v4
	v_sub_f32_e32 v10, v5, v6
	v_fmac_f32_e32 v100, 0x3f167918, v8
	v_fmac_f32_e32 v12, 0x3f167918, v13
	v_sub_f32_e32 v13, v11, v1
	v_add_f32_e32 v15, v15, v16
	v_fmac_f32_e32 v14, 0xbf167918, v8
	v_add_f32_e32 v8, v5, v11
	v_dual_add_f32 v2, v2, v4 :: v_dual_fmac_f32 v3, 0x3e9e377a, v7
	v_add_f32_e32 v16, v101, v5
	s_delay_alu instid0(VALU_DEP_3) | instskip(SKIP_3) | instid1(VALU_DEP_4)
	v_dual_add_f32 v10, v10, v13 :: v_dual_fmac_f32 v101, -0.5, v8
	v_fmac_f32_e32 v12, 0x3e9e377a, v7
	v_fmamk_f32 v7, v0, 0x3f737871, v25
	v_sub_f32_e32 v5, v6, v5
	v_fmamk_f32 v13, v9, 0xbf737871, v101
	v_fmac_f32_e32 v101, 0x3f737871, v9
	s_delay_alu instid0(VALU_DEP_4) | instskip(SKIP_1) | instid1(VALU_DEP_4)
	v_fmac_f32_e32 v7, 0x3f167918, v9
	v_dual_fmac_f32 v25, 0xbf737871, v0 :: v_dual_add_f32 v4, v16, v6
	v_fmac_f32_e32 v13, 0x3f167918, v0
	s_delay_alu instid0(VALU_DEP_4) | instskip(NEXT) | instid1(VALU_DEP_3)
	v_fmac_f32_e32 v101, 0xbf167918, v0
	v_fmac_f32_e32 v25, 0xbf167918, v9
	v_fmac_f32_e32 v14, 0x3e9e377a, v15
	v_dual_add_f32 v4, v4, v1 :: v_dual_sub_f32 v1, v1, v11
	s_wait_loadcnt 0xd
	s_delay_alu instid0(VALU_DEP_1)
	v_dual_add_f32 v1, v5, v1 :: v_dual_mul_f32 v8, v24, v28
	s_wait_loadcnt 0xa
	v_mul_f32_e32 v5, v32, v36
	v_fmac_f32_e32 v7, 0x3e9e377a, v10
	v_fmac_f32_e32 v25, 0x3e9e377a, v10
	;; [unrolled: 1-line block ×3, first 2 shown]
	v_fma_f32 v8, v23, v27, -v8
	v_fma_f32 v5, v31, v35, -v5
	v_mul_f32_e32 v6, v23, v28
	v_dual_add_f32 v4, v4, v11 :: v_dual_fmac_f32 v101, 0x3e9e377a, v1
	s_delay_alu instid0(VALU_DEP_4) | instskip(SKIP_4) | instid1(VALU_DEP_3)
	v_mul_f32_e32 v10, v8, v18
	s_wait_loadcnt 0x7
	v_mul_f32_e32 v11, v20, v48
	v_fmac_f32_e32 v6, v24, v27
	v_fmac_f32_e32 v100, 0x3e9e377a, v15
	v_fma_f32 v11, v19, v47, -v11
	s_delay_alu instid0(VALU_DEP_3) | instskip(SKIP_2) | instid1(VALU_DEP_3)
	v_mul_f32_e32 v9, v6, v18
	v_fmac_f32_e32 v10, v17, v6
	v_mul_f32_e32 v6, v31, v36
	v_fma_f32 v8, v17, v8, -v9
	s_delay_alu instid0(VALU_DEP_3) | instskip(NEXT) | instid1(VALU_DEP_3)
	v_mul_f32_e32 v0, v4, v10
	v_dual_fmac_f32 v6, v32, v35 :: v_dual_mul_f32 v9, v5, v22
	s_delay_alu instid0(VALU_DEP_2) | instskip(NEXT) | instid1(VALU_DEP_2)
	v_fmac_f32_e32 v0, v2, v8
	v_mul_f32_e32 v1, v6, v22
	s_delay_alu instid0(VALU_DEP_3) | instskip(SKIP_2) | instid1(VALU_DEP_4)
	v_fmac_f32_e32 v9, v21, v6
	v_mul_f32_e32 v6, v2, v10
	v_mul_f32_e32 v10, v19, v48
	v_fma_f32 v5, v21, v5, -v1
	s_delay_alu instid0(VALU_DEP_3) | instskip(NEXT) | instid1(VALU_DEP_3)
	v_fma_f32 v1, v4, v8, -v6
	v_fmac_f32_e32 v10, v20, v47
	s_wait_loadcnt 0x6
	v_mul_f32_e32 v6, v11, v46
	v_mul_f32_e32 v4, v3, v9
	s_wait_loadcnt 0x4
	v_mul_f32_e32 v8, v42, v44
	v_mad_co_u64_u32 v[19:20], null, 0x278, s8, v[57:58]
	v_fmac_f32_e32 v6, v45, v10
	v_dual_mul_f32 v2, v7, v9 :: v_dual_mul_f32 v9, v10, v46
	s_wait_loadcnt 0x1
	v_mul_f32_e32 v10, v37, v40
	s_delay_alu instid0(VALU_DEP_2)
	v_fmac_f32_e32 v2, v3, v5
	v_fma_f32 v3, v7, v5, -v4
	v_fma_f32 v7, v41, v43, -v8
	v_mul_f32_e32 v8, v38, v40
	v_mul_f32_e32 v5, v41, v44
	v_fma_f32 v11, v45, v11, -v9
	v_mul_f32_e32 v4, v13, v6
	v_mul_f32_e32 v9, v7, v34
	v_fma_f32 v15, v37, v39, -v8
	v_fmac_f32_e32 v5, v42, v43
	v_fmac_f32_e32 v10, v38, v39
	v_fmac_f32_e32 v4, v14, v11
	s_wait_loadcnt 0x0
	v_mul_f32_e32 v16, v15, v30
	v_mul_f32_e32 v8, v5, v34
	v_fmac_f32_e32 v9, v33, v5
	v_mul_f32_e32 v5, v14, v6
	v_mul_f32_e32 v14, v10, v30
	v_fmac_f32_e32 v16, v29, v10
	v_fma_f32 v7, v33, v7, -v8
	v_mul_f32_e32 v6, v101, v9
	v_mul_f32_e32 v17, v100, v9
	v_fma_f32 v14, v29, v15, -v14
	v_mul_f32_e32 v10, v25, v16
	v_mad_co_u64_u32 v[8:9], null, 0x78, s8, v[57:58]
	v_fma_f32 v5, v13, v11, -v5
	v_mul_f32_e32 v11, v12, v16
	s_delay_alu instid0(VALU_DEP_4)
	v_fmac_f32_e32 v10, v12, v14
	v_fmac_f32_e32 v6, v100, v7
	v_fma_f32 v7, v101, v7, -v17
	v_mad_co_u64_u32 v[12:13], null, 0xf8, s8, v[57:58]
	v_fma_f32 v11, v25, v14, -v11
	v_mad_co_u64_u32 v[14:15], null, 0x78, s9, v[9:10]
	v_mad_co_u64_u32 v[15:16], null, 0x178, s8, v[57:58]
	v_mad_co_u64_u32 v[17:18], null, 0x1f8, s8, v[57:58]
	s_delay_alu instid0(VALU_DEP_2)
	v_dual_mov_b32 v9, v14 :: v_dual_mov_b32 v14, v16
	v_mov_b32_e32 v16, v20
	global_store_b64 v[8:9], v[0:1], off
	v_mad_co_u64_u32 v[21:22], null, 0xf8, s9, v[13:14]
	v_mov_b32_e32 v13, v18
	v_mad_co_u64_u32 v[22:23], null, 0x178, s9, v[14:15]
	s_delay_alu instid0(VALU_DEP_2) | instskip(SKIP_1) | instid1(VALU_DEP_3)
	v_mad_co_u64_u32 v[23:24], null, 0x1f8, s9, v[13:14]
	v_mad_co_u64_u32 v[24:25], null, 0x278, s9, v[16:17]
	v_dual_mov_b32 v13, v21 :: v_dual_mov_b32 v16, v22
	s_delay_alu instid0(VALU_DEP_3) | instskip(NEXT) | instid1(VALU_DEP_3)
	v_mov_b32_e32 v18, v23
	v_mov_b32_e32 v20, v24
	s_clause 0x3
	global_store_b64 v[12:13], v[2:3], off
	global_store_b64 v[15:16], v[4:5], off
	;; [unrolled: 1-line block ×4, first 2 shown]
	s_nop 0
	s_sendmsg sendmsg(MSG_DEALLOC_VGPRS)
	s_endpgm
	.section	.rodata,"a",@progbits
	.p2align	6, 0x0
	.amdhsa_kernel fft_rtc_back_len80_factors_2_2_4_5_wgs_255_tpt_5_halfLds_dim2_sp_ip_CI_sbcc_twdbase8_3step_dirReg
		.amdhsa_group_segment_fixed_size 0
		.amdhsa_private_segment_fixed_size 0
		.amdhsa_kernarg_size 88
		.amdhsa_user_sgpr_count 2
		.amdhsa_user_sgpr_dispatch_ptr 0
		.amdhsa_user_sgpr_queue_ptr 0
		.amdhsa_user_sgpr_kernarg_segment_ptr 1
		.amdhsa_user_sgpr_dispatch_id 0
		.amdhsa_user_sgpr_private_segment_size 0
		.amdhsa_wavefront_size32 1
		.amdhsa_uses_dynamic_stack 0
		.amdhsa_enable_private_segment 0
		.amdhsa_system_sgpr_workgroup_id_x 1
		.amdhsa_system_sgpr_workgroup_id_y 0
		.amdhsa_system_sgpr_workgroup_id_z 0
		.amdhsa_system_sgpr_workgroup_info 0
		.amdhsa_system_vgpr_workitem_id 0
		.amdhsa_next_free_vgpr 132
		.amdhsa_next_free_sgpr 24
		.amdhsa_reserve_vcc 1
		.amdhsa_float_round_mode_32 0
		.amdhsa_float_round_mode_16_64 0
		.amdhsa_float_denorm_mode_32 3
		.amdhsa_float_denorm_mode_16_64 3
		.amdhsa_fp16_overflow 0
		.amdhsa_workgroup_processor_mode 1
		.amdhsa_memory_ordered 1
		.amdhsa_forward_progress 0
		.amdhsa_round_robin_scheduling 0
		.amdhsa_exception_fp_ieee_invalid_op 0
		.amdhsa_exception_fp_denorm_src 0
		.amdhsa_exception_fp_ieee_div_zero 0
		.amdhsa_exception_fp_ieee_overflow 0
		.amdhsa_exception_fp_ieee_underflow 0
		.amdhsa_exception_fp_ieee_inexact 0
		.amdhsa_exception_int_div_zero 0
	.end_amdhsa_kernel
	.text
.Lfunc_end0:
	.size	fft_rtc_back_len80_factors_2_2_4_5_wgs_255_tpt_5_halfLds_dim2_sp_ip_CI_sbcc_twdbase8_3step_dirReg, .Lfunc_end0-fft_rtc_back_len80_factors_2_2_4_5_wgs_255_tpt_5_halfLds_dim2_sp_ip_CI_sbcc_twdbase8_3step_dirReg
                                        ; -- End function
	.section	.AMDGPU.csdata,"",@progbits
; Kernel info:
; codeLenInByte = 14292
; NumSgprs: 26
; NumVgprs: 132
; ScratchSize: 0
; MemoryBound: 0
; FloatMode: 240
; IeeeMode: 1
; LDSByteSize: 0 bytes/workgroup (compile time only)
; SGPRBlocks: 3
; VGPRBlocks: 16
; NumSGPRsForWavesPerEU: 26
; NumVGPRsForWavesPerEU: 132
; Occupancy: 10
; WaveLimiterHint : 1
; COMPUTE_PGM_RSRC2:SCRATCH_EN: 0
; COMPUTE_PGM_RSRC2:USER_SGPR: 2
; COMPUTE_PGM_RSRC2:TRAP_HANDLER: 0
; COMPUTE_PGM_RSRC2:TGID_X_EN: 1
; COMPUTE_PGM_RSRC2:TGID_Y_EN: 0
; COMPUTE_PGM_RSRC2:TGID_Z_EN: 0
; COMPUTE_PGM_RSRC2:TIDIG_COMP_CNT: 0
	.text
	.p2alignl 7, 3214868480
	.fill 96, 4, 3214868480
	.type	__hip_cuid_f9f81e073caa30aa,@object ; @__hip_cuid_f9f81e073caa30aa
	.section	.bss,"aw",@nobits
	.globl	__hip_cuid_f9f81e073caa30aa
__hip_cuid_f9f81e073caa30aa:
	.byte	0                               ; 0x0
	.size	__hip_cuid_f9f81e073caa30aa, 1

	.ident	"AMD clang version 19.0.0git (https://github.com/RadeonOpenCompute/llvm-project roc-6.4.0 25133 c7fe45cf4b819c5991fe208aaa96edf142730f1d)"
	.section	".note.GNU-stack","",@progbits
	.addrsig
	.addrsig_sym __hip_cuid_f9f81e073caa30aa
	.amdgpu_metadata
---
amdhsa.kernels:
  - .args:
      - .actual_access:  read_only
        .address_space:  global
        .offset:         0
        .size:           8
        .value_kind:     global_buffer
      - .address_space:  global
        .offset:         8
        .size:           8
        .value_kind:     global_buffer
      - .actual_access:  read_only
        .address_space:  global
        .offset:         16
        .size:           8
        .value_kind:     global_buffer
      - .actual_access:  read_only
        .address_space:  global
        .offset:         24
        .size:           8
        .value_kind:     global_buffer
      - .offset:         32
        .size:           8
        .value_kind:     by_value
      - .actual_access:  read_only
        .address_space:  global
        .offset:         40
        .size:           8
        .value_kind:     global_buffer
      - .actual_access:  read_only
        .address_space:  global
        .offset:         48
        .size:           8
        .value_kind:     global_buffer
      - .offset:         56
        .size:           4
        .value_kind:     by_value
      - .actual_access:  read_only
        .address_space:  global
        .offset:         64
        .size:           8
        .value_kind:     global_buffer
      - .actual_access:  read_only
        .address_space:  global
        .offset:         72
        .size:           8
        .value_kind:     global_buffer
      - .address_space:  global
        .offset:         80
        .size:           8
        .value_kind:     global_buffer
    .group_segment_fixed_size: 0
    .kernarg_segment_align: 8
    .kernarg_segment_size: 88
    .language:       OpenCL C
    .language_version:
      - 2
      - 0
    .max_flat_workgroup_size: 255
    .name:           fft_rtc_back_len80_factors_2_2_4_5_wgs_255_tpt_5_halfLds_dim2_sp_ip_CI_sbcc_twdbase8_3step_dirReg
    .private_segment_fixed_size: 0
    .sgpr_count:     26
    .sgpr_spill_count: 0
    .symbol:         fft_rtc_back_len80_factors_2_2_4_5_wgs_255_tpt_5_halfLds_dim2_sp_ip_CI_sbcc_twdbase8_3step_dirReg.kd
    .uniform_work_group_size: 1
    .uses_dynamic_stack: false
    .vgpr_count:     132
    .vgpr_spill_count: 0
    .wavefront_size: 32
    .workgroup_processor_mode: 1
amdhsa.target:   amdgcn-amd-amdhsa--gfx1201
amdhsa.version:
  - 1
  - 2
...

	.end_amdgpu_metadata
